;; amdgpu-corpus repo=ROCm/rocFFT kind=compiled arch=gfx1030 opt=O3
	.text
	.amdgcn_target "amdgcn-amd-amdhsa--gfx1030"
	.amdhsa_code_object_version 6
	.protected	fft_rtc_fwd_len2880_factors_10_6_6_2_2_2_wgs_96_tpt_96_halfLds_dp_ip_CI_unitstride_sbrr_R2C_dirReg ; -- Begin function fft_rtc_fwd_len2880_factors_10_6_6_2_2_2_wgs_96_tpt_96_halfLds_dp_ip_CI_unitstride_sbrr_R2C_dirReg
	.globl	fft_rtc_fwd_len2880_factors_10_6_6_2_2_2_wgs_96_tpt_96_halfLds_dp_ip_CI_unitstride_sbrr_R2C_dirReg
	.p2align	8
	.type	fft_rtc_fwd_len2880_factors_10_6_6_2_2_2_wgs_96_tpt_96_halfLds_dp_ip_CI_unitstride_sbrr_R2C_dirReg,@function
fft_rtc_fwd_len2880_factors_10_6_6_2_2_2_wgs_96_tpt_96_halfLds_dp_ip_CI_unitstride_sbrr_R2C_dirReg: ; @fft_rtc_fwd_len2880_factors_10_6_6_2_2_2_wgs_96_tpt_96_halfLds_dp_ip_CI_unitstride_sbrr_R2C_dirReg
; %bb.0:
	s_mov_b64 s[26:27], s[2:3]
	s_mov_b64 s[24:25], s[0:1]
	s_clause 0x2
	s_load_dwordx4 s[8:11], s[4:5], 0x0
	s_load_dwordx2 s[2:3], s[4:5], 0x50
	s_load_dwordx2 s[12:13], s[4:5], 0x18
	v_mul_u32_u24_e32 v1, 0x2ab, v0
	v_mov_b32_e32 v3, 0
	s_add_u32 s24, s24, s7
	s_addc_u32 s25, s25, 0
	v_add_nc_u32_sdwa v5, s6, v1 dst_sel:DWORD dst_unused:UNUSED_PAD src0_sel:DWORD src1_sel:WORD_1
	v_mov_b32_e32 v1, 0
	v_mov_b32_e32 v6, v3
	;; [unrolled: 1-line block ×3, first 2 shown]
	s_waitcnt lgkmcnt(0)
	v_cmp_lt_u64_e64 s0, s[10:11], 2
	s_and_b32 vcc_lo, exec_lo, s0
	s_cbranch_vccnz .LBB0_8
; %bb.1:
	s_load_dwordx2 s[0:1], s[4:5], 0x10
	v_mov_b32_e32 v1, 0
	s_add_u32 s6, s12, 8
	v_mov_b32_e32 v2, 0
	s_addc_u32 s7, s13, 0
	s_mov_b64 s[16:17], 1
	s_waitcnt lgkmcnt(0)
	s_add_u32 s14, s0, 8
	s_addc_u32 s15, s1, 0
.LBB0_2:                                ; =>This Inner Loop Header: Depth=1
	s_load_dwordx2 s[18:19], s[14:15], 0x0
                                        ; implicit-def: $vgpr7_vgpr8
	s_mov_b32 s0, exec_lo
	s_waitcnt lgkmcnt(0)
	v_or_b32_e32 v4, s19, v6
	v_cmpx_ne_u64_e32 0, v[3:4]
	s_xor_b32 s1, exec_lo, s0
	s_cbranch_execz .LBB0_4
; %bb.3:                                ;   in Loop: Header=BB0_2 Depth=1
	v_cvt_f32_u32_e32 v4, s18
	v_cvt_f32_u32_e32 v7, s19
	s_sub_u32 s0, 0, s18
	s_subb_u32 s20, 0, s19
	v_fmac_f32_e32 v4, 0x4f800000, v7
	v_rcp_f32_e32 v4, v4
	v_mul_f32_e32 v4, 0x5f7ffffc, v4
	v_mul_f32_e32 v7, 0x2f800000, v4
	v_trunc_f32_e32 v7, v7
	v_fmac_f32_e32 v4, 0xcf800000, v7
	v_cvt_u32_f32_e32 v7, v7
	v_cvt_u32_f32_e32 v4, v4
	v_mul_lo_u32 v8, s0, v7
	v_mul_hi_u32 v9, s0, v4
	v_mul_lo_u32 v10, s20, v4
	v_add_nc_u32_e32 v8, v9, v8
	v_mul_lo_u32 v9, s0, v4
	v_add_nc_u32_e32 v8, v8, v10
	v_mul_hi_u32 v10, v4, v9
	v_mul_lo_u32 v11, v4, v8
	v_mul_hi_u32 v12, v4, v8
	v_mul_hi_u32 v13, v7, v9
	v_mul_lo_u32 v9, v7, v9
	v_mul_hi_u32 v14, v7, v8
	v_mul_lo_u32 v8, v7, v8
	v_add_co_u32 v10, vcc_lo, v10, v11
	v_add_co_ci_u32_e32 v11, vcc_lo, 0, v12, vcc_lo
	v_add_co_u32 v9, vcc_lo, v10, v9
	v_add_co_ci_u32_e32 v9, vcc_lo, v11, v13, vcc_lo
	v_add_co_ci_u32_e32 v10, vcc_lo, 0, v14, vcc_lo
	v_add_co_u32 v8, vcc_lo, v9, v8
	v_add_co_ci_u32_e32 v9, vcc_lo, 0, v10, vcc_lo
	v_add_co_u32 v4, vcc_lo, v4, v8
	v_add_co_ci_u32_e32 v7, vcc_lo, v7, v9, vcc_lo
	v_mul_hi_u32 v8, s0, v4
	v_mul_lo_u32 v10, s20, v4
	v_mul_lo_u32 v9, s0, v7
	v_add_nc_u32_e32 v8, v8, v9
	v_mul_lo_u32 v9, s0, v4
	v_add_nc_u32_e32 v8, v8, v10
	v_mul_hi_u32 v10, v4, v9
	v_mul_lo_u32 v11, v4, v8
	v_mul_hi_u32 v12, v4, v8
	v_mul_hi_u32 v13, v7, v9
	v_mul_lo_u32 v9, v7, v9
	v_mul_hi_u32 v14, v7, v8
	v_mul_lo_u32 v8, v7, v8
	v_add_co_u32 v10, vcc_lo, v10, v11
	v_add_co_ci_u32_e32 v11, vcc_lo, 0, v12, vcc_lo
	v_add_co_u32 v9, vcc_lo, v10, v9
	v_add_co_ci_u32_e32 v9, vcc_lo, v11, v13, vcc_lo
	v_add_co_ci_u32_e32 v10, vcc_lo, 0, v14, vcc_lo
	v_add_co_u32 v8, vcc_lo, v9, v8
	v_add_co_ci_u32_e32 v9, vcc_lo, 0, v10, vcc_lo
	v_add_co_u32 v4, vcc_lo, v4, v8
	v_add_co_ci_u32_e32 v11, vcc_lo, v7, v9, vcc_lo
	v_mul_hi_u32 v13, v5, v4
	v_mad_u64_u32 v[9:10], null, v6, v4, 0
	v_mad_u64_u32 v[7:8], null, v5, v11, 0
	;; [unrolled: 1-line block ×3, first 2 shown]
	v_add_co_u32 v4, vcc_lo, v13, v7
	v_add_co_ci_u32_e32 v7, vcc_lo, 0, v8, vcc_lo
	v_add_co_u32 v4, vcc_lo, v4, v9
	v_add_co_ci_u32_e32 v4, vcc_lo, v7, v10, vcc_lo
	v_add_co_ci_u32_e32 v7, vcc_lo, 0, v12, vcc_lo
	v_add_co_u32 v4, vcc_lo, v4, v11
	v_add_co_ci_u32_e32 v9, vcc_lo, 0, v7, vcc_lo
	v_mul_lo_u32 v10, s19, v4
	v_mad_u64_u32 v[7:8], null, s18, v4, 0
	v_mul_lo_u32 v11, s18, v9
	v_sub_co_u32 v7, vcc_lo, v5, v7
	v_add3_u32 v8, v8, v11, v10
	v_sub_nc_u32_e32 v10, v6, v8
	v_subrev_co_ci_u32_e64 v10, s0, s19, v10, vcc_lo
	v_add_co_u32 v11, s0, v4, 2
	v_add_co_ci_u32_e64 v12, s0, 0, v9, s0
	v_sub_co_u32 v13, s0, v7, s18
	v_sub_co_ci_u32_e32 v8, vcc_lo, v6, v8, vcc_lo
	v_subrev_co_ci_u32_e64 v10, s0, 0, v10, s0
	v_cmp_le_u32_e32 vcc_lo, s18, v13
	v_cmp_eq_u32_e64 s0, s19, v8
	v_cndmask_b32_e64 v13, 0, -1, vcc_lo
	v_cmp_le_u32_e32 vcc_lo, s19, v10
	v_cndmask_b32_e64 v14, 0, -1, vcc_lo
	v_cmp_le_u32_e32 vcc_lo, s18, v7
	;; [unrolled: 2-line block ×3, first 2 shown]
	v_cndmask_b32_e64 v15, 0, -1, vcc_lo
	v_cmp_eq_u32_e32 vcc_lo, s19, v10
	v_cndmask_b32_e64 v7, v15, v7, s0
	v_cndmask_b32_e32 v10, v14, v13, vcc_lo
	v_add_co_u32 v13, vcc_lo, v4, 1
	v_add_co_ci_u32_e32 v14, vcc_lo, 0, v9, vcc_lo
	v_cmp_ne_u32_e32 vcc_lo, 0, v10
	v_cndmask_b32_e32 v8, v14, v12, vcc_lo
	v_cndmask_b32_e32 v10, v13, v11, vcc_lo
	v_cmp_ne_u32_e32 vcc_lo, 0, v7
	v_cndmask_b32_e32 v8, v9, v8, vcc_lo
	v_cndmask_b32_e32 v7, v4, v10, vcc_lo
.LBB0_4:                                ;   in Loop: Header=BB0_2 Depth=1
	s_andn2_saveexec_b32 s0, s1
	s_cbranch_execz .LBB0_6
; %bb.5:                                ;   in Loop: Header=BB0_2 Depth=1
	v_cvt_f32_u32_e32 v4, s18
	s_sub_i32 s1, 0, s18
	v_rcp_iflag_f32_e32 v4, v4
	v_mul_f32_e32 v4, 0x4f7ffffe, v4
	v_cvt_u32_f32_e32 v4, v4
	v_mul_lo_u32 v7, s1, v4
	v_mul_hi_u32 v7, v4, v7
	v_add_nc_u32_e32 v4, v4, v7
	v_mul_hi_u32 v4, v5, v4
	v_mul_lo_u32 v7, v4, s18
	v_add_nc_u32_e32 v8, 1, v4
	v_sub_nc_u32_e32 v7, v5, v7
	v_subrev_nc_u32_e32 v9, s18, v7
	v_cmp_le_u32_e32 vcc_lo, s18, v7
	v_cndmask_b32_e32 v7, v7, v9, vcc_lo
	v_cndmask_b32_e32 v4, v4, v8, vcc_lo
	v_cmp_le_u32_e32 vcc_lo, s18, v7
	v_add_nc_u32_e32 v8, 1, v4
	v_cndmask_b32_e32 v7, v4, v8, vcc_lo
	v_mov_b32_e32 v8, v3
.LBB0_6:                                ;   in Loop: Header=BB0_2 Depth=1
	s_or_b32 exec_lo, exec_lo, s0
	s_load_dwordx2 s[0:1], s[6:7], 0x0
	v_mul_lo_u32 v4, v8, s18
	v_mul_lo_u32 v11, v7, s19
	v_mad_u64_u32 v[9:10], null, v7, s18, 0
	s_add_u32 s16, s16, 1
	s_addc_u32 s17, s17, 0
	s_add_u32 s6, s6, 8
	s_addc_u32 s7, s7, 0
	;; [unrolled: 2-line block ×3, first 2 shown]
	v_add3_u32 v4, v10, v11, v4
	v_sub_co_u32 v5, vcc_lo, v5, v9
	v_sub_co_ci_u32_e32 v4, vcc_lo, v6, v4, vcc_lo
	s_waitcnt lgkmcnt(0)
	v_mul_lo_u32 v6, s1, v5
	v_mul_lo_u32 v4, s0, v4
	v_mad_u64_u32 v[1:2], null, s0, v5, v[1:2]
	v_cmp_ge_u64_e64 s0, s[16:17], s[10:11]
	s_and_b32 vcc_lo, exec_lo, s0
	v_add3_u32 v2, v6, v2, v4
	s_cbranch_vccnz .LBB0_9
; %bb.7:                                ;   in Loop: Header=BB0_2 Depth=1
	v_mov_b32_e32 v5, v7
	v_mov_b32_e32 v6, v8
	s_branch .LBB0_2
.LBB0_8:
	v_mov_b32_e32 v8, v6
	v_mov_b32_e32 v7, v5
.LBB0_9:
	s_lshl_b64 s[0:1], s[10:11], 3
	v_mul_hi_u32 v3, 0x2aaaaab, v0
	s_add_u32 s0, s12, s0
	s_addc_u32 s1, s13, s1
	s_load_dwordx2 s[4:5], s[4:5], 0x20
	s_load_dwordx2 s[0:1], s[0:1], 0x0
                                        ; implicit-def: $vgpr103
                                        ; implicit-def: $vgpr156
                                        ; implicit-def: $vgpr148
                                        ; implicit-def: $vgpr150
                                        ; implicit-def: $vgpr154
                                        ; implicit-def: $vgpr146
                                        ; implicit-def: $vgpr124
                                        ; implicit-def: $vgpr136
                                        ; implicit-def: $vgpr134
                                        ; implicit-def: $vgpr144
                                        ; implicit-def: $vgpr142
                                        ; implicit-def: $vgpr140
                                        ; implicit-def: $vgpr138
                                        ; implicit-def: $vgpr152_vgpr153
                                        ; implicit-def: $vgpr132_vgpr133
                                        ; implicit-def: $vgpr130_vgpr131
                                        ; implicit-def: $vgpr128_vgpr129
                                        ; implicit-def: $vgpr126_vgpr127
                                        ; implicit-def: $vgpr122_vgpr123
                                        ; implicit-def: $vgpr120_vgpr121
	v_mul_u32_u24_e32 v3, 0x60, v3
	v_sub_nc_u32_e32 v70, v0, v3
	v_add_nc_u32_e32 v106, 0x60, v70
	v_add_nc_u32_e32 v68, 0xc0, v70
	;; [unrolled: 1-line block ×5, first 2 shown]
	s_waitcnt lgkmcnt(0)
	v_cmp_gt_u64_e32 vcc_lo, s[4:5], v[7:8]
	v_mul_lo_u32 v3, s0, v8
	v_mul_lo_u32 v4, s1, v7
	v_mad_u64_u32 v[0:1], null, s0, v7, v[1:2]
	v_cmp_le_u64_e64 s0, s[4:5], v[7:8]
	v_or_b32_e32 v98, 0x180, v70
	v_add_nc_u32_e32 v94, 0x240, v70
	v_add_nc_u32_e32 v88, 0x2a0, v70
	v_or_b32_e32 v90, 0x300, v70
	v_add_nc_u32_e32 v86, 0x360, v70
	v_add_nc_u32_e32 v80, 0x420, v70
	v_or_b32_e32 v78, 0x480, v70
	v_add_nc_u32_e32 v76, 0x4e0, v70
	v_add3_u32 v1, v4, v1, v3
	v_add_nc_u32_e32 v74, 0x540, v70
                                        ; implicit-def: $vgpr2_vgpr3
                                        ; kill: killed $vgpr2_vgpr3
                                        ; implicit-def: $vgpr2_vgpr3
                                        ; kill: killed $vgpr2_vgpr3
	;; [unrolled: 2-line block ×6, first 2 shown]
	s_and_saveexec_b32 s1, s0
	s_xor_b32 s0, exec_lo, s1
	s_cbranch_execz .LBB0_11
; %bb.10:
	v_mov_b32_e32 v71, 0
	v_add_nc_u32_e32 v156, 0x1e0, v70
	v_add_nc_u32_e32 v150, 0x120, v70
	v_or_b32_e32 v154, 0x180, v70
	v_add_nc_u32_e32 v146, 0x240, v70
	v_add_nc_u32_e32 v124, 0x2a0, v70
	v_or_b32_e32 v136, 0x300, v70
	v_mov_b32_e32 v104, v71
	v_add_nc_u32_e32 v103, 0xc0, v70
	v_mov_b32_e32 v151, v71
	v_mov_b32_e32 v155, v71
	;; [unrolled: 1-line block ×13, first 2 shown]
	v_add_nc_u32_e32 v106, 0x60, v70
	v_add_nc_u32_e32 v134, 0x360, v70
	v_mov_b32_e32 v107, v71
	v_mov_b32_e32 v135, v71
	;; [unrolled: 1-line block ×9, first 2 shown]
	v_add_nc_u32_e32 v148, 0x3c0, v70
	v_mov_b32_e32 v149, v71
	v_add_nc_u32_e32 v144, 0x420, v70
	v_or_b32_e32 v142, 0x480, v70
	v_add_nc_u32_e32 v140, 0x4e0, v70
	v_add_nc_u32_e32 v138, 0x540, v70
	v_mov_b32_e32 v145, v71
	v_mov_b32_e32 v143, v71
	;; [unrolled: 1-line block ×4, first 2 shown]
	buffer_store_dword v134, off, s[24:27], 0 offset:48 ; 4-byte Folded Spill
	buffer_store_dword v135, off, s[24:27], 0 offset:52 ; 4-byte Folded Spill
	;; [unrolled: 1-line block ×12, first 2 shown]
.LBB0_11:
	s_or_saveexec_b32 s1, s0
	v_lshlrev_b64 v[0:1], 4, v[0:1]
	v_or_b32_e32 v102, 0x600, v70
	v_or_b32_e32 v92, 0x780, v70
	;; [unrolled: 1-line block ×4, first 2 shown]
	buffer_store_dword v0, off, s[24:27], 0 ; 4-byte Folded Spill
	buffer_store_dword v1, off, s[24:27], 0 offset:4 ; 4-byte Folded Spill
	s_xor_b32 exec_lo, exec_lo, s1
	s_cbranch_execz .LBB0_13
; %bb.12:
	s_clause 0x1
	buffer_load_dword v2, off, s[24:27], 0
	buffer_load_dword v3, off, s[24:27], 0 offset:4
	v_mov_b32_e32 v71, 0
	v_mov_b32_e32 v138, v74
	;; [unrolled: 1-line block ×5, first 2 shown]
	v_lshlrev_b64 v[0:1], 4, v[70:71]
	v_mov_b32_e32 v99, v71
	v_mov_b32_e32 v91, v71
	;; [unrolled: 1-line block ×5, first 2 shown]
	v_lshlrev_b64 v[16:17], 4, v[98:99]
	v_lshlrev_b64 v[32:33], 4, v[90:91]
	;; [unrolled: 1-line block ×5, first 2 shown]
	v_mov_b32_e32 v83, v71
	v_mov_b32_e32 v73, v71
	;; [unrolled: 1-line block ×5, first 2 shown]
	v_lshlrev_b64 v[117:118], 4, v[82:83]
	v_mov_b32_e32 v89, v71
	v_mov_b32_e32 v121, v91
	;; [unrolled: 1-line block ×26, first 2 shown]
	s_waitcnt vmcnt(1)
	v_add_co_u32 v69, s0, s2, v2
	s_waitcnt vmcnt(0)
	v_add_co_ci_u32_e64 v75, s0, s3, v3, s0
	v_add_co_u32 v107, s0, v69, v0
	v_add_co_ci_u32_e64 v108, s0, v75, v1, s0
	v_add_co_u32 v8, s0, 0x800, v107
	;; [unrolled: 2-line block ×19, first 2 shown]
	v_add_co_ci_u32_e64 v114, s0, 0, v108, s0
	s_clause 0x13
	global_load_dwordx4 v[0:3], v[107:108], off
	global_load_dwordx4 v[4:7], v[107:108], off offset:1536
	global_load_dwordx4 v[8:11], v[8:9], off offset:1024
	global_load_dwordx4 v[12:15], v[12:13], off offset:512
	global_load_dwordx4 v[16:19], v[16:17], off
	global_load_dwordx4 v[20:23], v[20:21], off offset:1536
	global_load_dwordx4 v[24:27], v[24:25], off offset:1024
	global_load_dwordx4 v[28:31], v[28:29], off offset:512
	;; [unrolled: 4-line block ×5, first 2 shown]
	v_add_co_u32 v109, s0, v69, v115
	v_add_co_ci_u32_e64 v110, s0, v75, v116, s0
	v_add_co_u32 v111, s0, 0x7800, v107
	v_add_co_ci_u32_e64 v112, s0, 0, v108, s0
	;; [unrolled: 2-line block ×4, first 2 shown]
	s_clause 0x3
	global_load_dwordx4 v[169:172], v[109:110], off
	global_load_dwordx4 v[173:176], v[111:112], off offset:1536
	global_load_dwordx4 v[177:180], v[113:114], off offset:1024
	;; [unrolled: 1-line block ×3, first 2 shown]
	v_add_co_u32 v109, s0, v69, v117
	v_add_co_ci_u32_e64 v110, s0, v75, v118, s0
	v_add_co_u32 v113, s0, 0x9000, v107
	v_add_co_ci_u32_e64 v114, s0, 0, v108, s0
	v_lshlrev_b64 v[111:112], 4, v[72:73]
	v_add_co_u32 v115, s0, 0x9800, v107
	v_add_co_ci_u32_e64 v116, s0, 0, v108, s0
	v_add_co_u32 v117, s0, 0xa000, v107
	v_add_co_ci_u32_e64 v118, s0, 0, v108, s0
	;; [unrolled: 2-line block ×4, first 2 shown]
	s_clause 0x5
	global_load_dwordx4 v[185:188], v[109:110], off
	global_load_dwordx4 v[189:192], v[113:114], off offset:1536
	global_load_dwordx4 v[193:196], v[115:116], off offset:1024
	;; [unrolled: 1-line block ×3, first 2 shown]
	global_load_dwordx4 v[201:204], v[111:112], off
	global_load_dwordx4 v[205:208], v[107:108], off offset:1536
	v_mov_b32_e32 v69, v71
	v_lshl_add_u32 v73, v70, 4, 0
	v_mov_b32_e32 v75, v71
	v_mov_b32_e32 v107, v71
	buffer_store_dword v74, off, s[24:27], 0 offset:8 ; 4-byte Folded Spill
	buffer_store_dword v75, off, s[24:27], 0 offset:12 ; 4-byte Folded Spill
	;; [unrolled: 1-line block ×12, first 2 shown]
	v_mov_b32_e32 v153, v69
	v_mov_b32_e32 v152, v68
	s_waitcnt vmcnt(29)
	ds_write_b128 v73, v[0:3]
	s_waitcnt vmcnt(28)
	ds_write_b128 v73, v[4:7] offset:1536
	s_waitcnt vmcnt(27)
	ds_write_b128 v73, v[8:11] offset:3072
	s_waitcnt vmcnt(26)
	ds_write_b128 v73, v[12:15] offset:4608
	s_waitcnt vmcnt(25)
	ds_write_b128 v73, v[16:19] offset:6144
	s_waitcnt vmcnt(24)
	ds_write_b128 v73, v[20:23] offset:7680
	s_waitcnt vmcnt(23)
	ds_write_b128 v73, v[24:27] offset:9216
	s_waitcnt vmcnt(22)
	ds_write_b128 v73, v[28:31] offset:10752
	s_waitcnt vmcnt(21)
	ds_write_b128 v73, v[32:35] offset:12288
	s_waitcnt vmcnt(20)
	ds_write_b128 v73, v[36:39] offset:13824
	s_waitcnt vmcnt(19)
	ds_write_b128 v73, v[40:43] offset:15360
	s_waitcnt vmcnt(18)
	ds_write_b128 v73, v[44:47] offset:16896
	s_waitcnt vmcnt(17)
	ds_write_b128 v73, v[48:51] offset:18432
	s_waitcnt vmcnt(16)
	ds_write_b128 v73, v[52:55] offset:19968
	s_waitcnt vmcnt(15)
	ds_write_b128 v73, v[56:59] offset:21504
	s_waitcnt vmcnt(14)
	ds_write_b128 v73, v[60:63] offset:23040
	s_waitcnt vmcnt(13)
	ds_write_b128 v73, v[64:67] offset:24576
	s_waitcnt vmcnt(12)
	ds_write_b128 v73, v[157:160] offset:26112
	s_waitcnt vmcnt(11)
	ds_write_b128 v73, v[161:164] offset:27648
	s_waitcnt vmcnt(10)
	ds_write_b128 v73, v[165:168] offset:29184
	s_waitcnt vmcnt(9)
	ds_write_b128 v73, v[169:172] offset:30720
	s_waitcnt vmcnt(8)
	ds_write_b128 v73, v[173:176] offset:32256
	s_waitcnt vmcnt(7)
	ds_write_b128 v73, v[177:180] offset:33792
	s_waitcnt vmcnt(6)
	ds_write_b128 v73, v[181:184] offset:35328
	s_waitcnt vmcnt(5)
	ds_write_b128 v73, v[185:188] offset:36864
	s_waitcnt vmcnt(4)
	ds_write_b128 v73, v[189:192] offset:38400
	s_waitcnt vmcnt(3)
	ds_write_b128 v73, v[193:196] offset:39936
	s_waitcnt vmcnt(2)
	ds_write_b128 v73, v[197:200] offset:41472
	s_waitcnt vmcnt(1)
	ds_write_b128 v73, v[201:204] offset:43008
	s_waitcnt vmcnt(0)
	ds_write_b128 v73, v[205:208] offset:44544
.LBB0_13:
	s_or_b32 exec_lo, exec_lo, s1
	v_lshlrev_b32_e32 v69, 4, v70
	s_waitcnt lgkmcnt(0)
	s_waitcnt_vscnt null, 0x0
	s_barrier
	buffer_gl0_inv
	s_mov_b32 s4, 0x134454ff
	v_add_nc_u32_e32 v125, 0, v69
	s_mov_b32 s5, 0x3fee6f0e
	s_mov_b32 s13, 0xbfee6f0e
	;; [unrolled: 1-line block ×4, first 2 shown]
	ds_read_b128 v[12:15], v125 offset:32256
	ds_read_b128 v[16:19], v125 offset:23040
	;; [unrolled: 1-line block ×5, first 2 shown]
	ds_read_b128 v[44:47], v125
	ds_read_b128 v[48:51], v125 offset:4608
	ds_read_b128 v[52:55], v125 offset:18432
	;; [unrolled: 1-line block ×18, first 2 shown]
	s_mov_b32 s1, 0x3fe2cf23
	s_mov_b32 s11, 0xbfe2cf23
	;; [unrolled: 1-line block ×7, first 2 shown]
	v_mul_u32_u24_e32 v73, 10, v70
	v_and_b32_e32 v75, 0xff, v70
	v_mov_b32_e32 v91, 5
	v_and_b32_e32 v93, 0xff, v106
	v_lshl_add_u32 v79, v156, 4, 0
	s_waitcnt lgkmcnt(7)
	v_add_f64 v[108:109], v[163:164], -v[167:168]
	v_add_f64 v[193:194], v[44:45], v[40:41]
	s_waitcnt lgkmcnt(6)
	v_add_f64 v[225:226], v[40:41], v[169:170]
	v_add_f64 v[185:186], v[16:17], v[12:13]
	;; [unrolled: 1-line block ×5, first 2 shown]
	v_add_f64 v[195:196], v[38:39], -v[10:11]
	v_add_f64 v[199:200], v[18:19], -v[14:15]
	;; [unrolled: 1-line block ×3, first 2 shown]
	v_add_f64 v[203:204], v[52:53], v[56:57]
	v_add_f64 v[207:208], v[40:41], -v[52:53]
	v_add_f64 v[209:210], v[52:53], -v[40:41]
	v_add_f64 v[211:212], v[54:55], v[58:59]
	v_add_f64 v[215:216], v[36:37], -v[8:9]
	v_add_f64 v[219:220], v[36:37], -v[16:17]
	;; [unrolled: 1-line block ×4, first 2 shown]
	v_add_f64 v[40:41], v[42:43], v[171:172]
	v_add_f64 v[229:230], v[16:17], -v[36:37]
	v_add_f64 v[231:232], v[18:19], -v[38:39]
	;; [unrolled: 1-line block ×4, first 2 shown]
	v_add_f64 v[36:37], v[48:49], v[36:37]
	v_add_f64 v[239:240], v[50:51], v[38:39]
	v_fma_f64 v[185:186], v[185:186], -0.5, v[48:49]
	v_fma_f64 v[187:188], v[187:188], -0.5, v[50:51]
	;; [unrolled: 1-line block ×4, first 2 shown]
	v_add_f64 v[197:198], v[46:47], v[42:43]
	v_add_f64 v[205:206], v[54:55], -v[58:59]
	v_add_f64 v[213:214], v[52:53], -v[56:57]
	;; [unrolled: 1-line block ×9, first 2 shown]
	v_add_f64 v[219:220], v[219:220], v[221:222]
	v_fma_f64 v[203:204], v[203:204], -0.5, v[44:45]
	v_fma_f64 v[44:45], v[225:226], -0.5, v[44:45]
	;; [unrolled: 1-line block ×4, first 2 shown]
	v_add_f64 v[229:230], v[229:230], v[233:234]
	v_add_f64 v[231:232], v[231:232], v[237:238]
	v_add_f64 v[249:250], v[54:55], -v[42:43]
	v_fma_f64 v[235:236], v[195:196], s[4:5], v[185:186]
	v_fma_f64 v[48:49], v[201:202], s[4:5], v[187:188]
	v_fma_f64 v[50:51], v[199:200], s[12:13], v[189:190]
	v_fma_f64 v[187:188], v[201:202], s[12:13], v[187:188]
	v_fma_f64 v[189:190], v[199:200], s[4:5], v[189:190]
	v_fma_f64 v[185:186], v[195:196], s[12:13], v[185:186]
	v_fma_f64 v[221:222], v[215:216], s[4:5], v[191:192]
	v_fma_f64 v[191:192], v[215:216], s[12:13], v[191:192]
	v_add_f64 v[251:252], v[58:59], -v[171:172]
	v_add_f64 v[52:53], v[193:194], v[52:53]
	v_add_f64 v[38:39], v[38:39], v[241:242]
	;; [unrolled: 1-line block ×6, first 2 shown]
	v_fma_f64 v[36:37], v[223:224], s[4:5], v[203:204]
	v_add_f64 v[207:208], v[209:210], v[245:246]
	v_fma_f64 v[197:198], v[227:228], s[12:13], v[211:212]
	v_fma_f64 v[209:210], v[205:206], s[12:13], v[44:45]
	;; [unrolled: 1-line block ×10, first 2 shown]
	v_add_f64 v[195:196], v[217:218], v[247:248]
	v_fma_f64 v[185:186], v[199:200], s[10:11], v[185:186]
	v_fma_f64 v[199:200], v[201:202], s[0:1], v[221:222]
	v_fma_f64 v[191:192], v[201:202], s[10:11], v[191:192]
	v_fma_f64 v[215:216], v[213:214], s[4:5], v[46:47]
	v_fma_f64 v[46:47], v[213:214], s[12:13], v[46:47]
	v_add_f64 v[52:53], v[52:53], v[56:57]
	v_add_f64 v[54:55], v[54:55], v[58:59]
	;; [unrolled: 1-line block ×4, first 2 shown]
	v_fma_f64 v[56:57], v[205:206], s[0:1], v[36:37]
	ds_read_b128 v[40:43], v125 offset:33792
	ds_read_b128 v[48:51], v125 offset:35328
	v_fma_f64 v[58:59], v[213:214], s[10:11], v[197:198]
	v_fma_f64 v[209:210], v[223:224], s[0:1], v[209:210]
	;; [unrolled: 1-line block ×9, first 2 shown]
	v_add_f64 v[225:226], v[249:250], v[251:252]
	v_fma_f64 v[189:190], v[229:230], s[6:7], v[189:190]
	v_fma_f64 v[185:186], v[219:220], s[6:7], v[185:186]
	;; [unrolled: 1-line block ×6, first 2 shown]
	ds_read_b128 v[12:15], v125 offset:43008
	ds_read_b128 v[36:39], v125 offset:44544
	v_add_f64 v[52:53], v[52:53], v[169:170]
	v_add_f64 v[54:55], v[54:55], v[171:172]
	;; [unrolled: 1-line block ×4, first 2 shown]
	v_fma_f64 v[56:57], v[193:194], s[6:7], v[56:57]
	v_fma_f64 v[58:59], v[195:196], s[6:7], v[58:59]
	ds_read_b128 v[8:11], v125 offset:6144
	v_add_f64 v[235:236], v[161:162], v[165:166]
	v_fma_f64 v[231:232], v[193:194], s[6:7], v[203:204]
	v_fma_f64 v[211:212], v[195:196], s[6:7], v[211:212]
	v_mul_f64 v[199:200], v[201:202], s[14:15]
	v_mul_f64 v[201:202], v[201:202], s[10:11]
	;; [unrolled: 1-line block ×8, first 2 shown]
	s_waitcnt lgkmcnt(6)
	v_add_f64 v[241:242], v[183:184], -v[179:180]
	s_waitcnt lgkmcnt(2)
	v_add_f64 v[243:244], v[42:43], -v[14:15]
	v_add_f64 v[251:252], v[157:158], v[173:174]
	v_add_f64 v[233:234], v[62:63], v[159:160]
	;; [unrolled: 1-line block ×3, first 2 shown]
	v_add_f64 v[239:240], v[181:182], -v[177:178]
	v_add_f64 v[16:17], v[52:53], v[169:170]
	v_add_f64 v[18:19], v[54:55], v[171:172]
	v_add_f64 v[247:248], v[40:41], -v[12:13]
	v_add_f64 v[253:254], v[159:160], v[175:176]
	v_add_f64 v[104:105], v[159:160], -v[175:176]
	v_fma_f64 v[235:236], v[235:236], -0.5, v[60:61]
	v_add_f64 v[110:111], v[157:158], -v[173:174]
	v_lshl_add_u32 v73, v73, 4, 0
	v_fma_f64 v[199:200], v[191:192], s[0:1], v[199:200]
	v_fma_f64 v[191:192], v[191:192], s[14:15], v[201:202]
	;; [unrolled: 1-line block ×6, first 2 shown]
	v_add_f64 v[219:220], v[181:182], v[40:41]
	v_add_f64 v[229:230], v[179:180], v[14:15]
	v_fma_f64 v[225:226], v[225:226], s[6:7], v[46:47]
	v_fma_f64 v[223:224], v[189:190], s[12:13], -v[223:224]
	v_add_f64 v[221:222], v[177:178], v[12:13]
	v_fma_f64 v[207:208], v[207:208], s[6:7], v[44:45]
	v_fma_f64 v[205:206], v[187:188], s[4:5], -v[205:206]
	v_add_f64 v[44:45], v[52:53], -v[169:170]
	v_add_f64 v[46:47], v[54:55], -v[171:172]
	v_fma_f64 v[213:214], v[197:198], s[0:1], -v[213:214]
	v_fma_f64 v[227:228], v[185:186], s[10:11], -v[227:228]
	v_add_f64 v[241:242], v[241:242], v[243:244]
	v_add_f64 v[233:234], v[233:234], v[163:164]
	v_fma_f64 v[237:238], v[237:238], -0.5, v[62:63]
	v_add_f64 v[239:240], v[239:240], v[247:248]
	v_add_f64 v[247:248], v[161:162], -v[165:166]
	v_add_f64 v[52:53], v[56:57], v[199:200]
	v_add_f64 v[54:55], v[58:59], v[191:192]
	v_add_f64 v[56:57], v[56:57], -v[199:200]
	v_add_f64 v[58:59], v[58:59], -v[191:192]
	ds_read_b128 v[189:192], v125 offset:7680
	v_add_f64 v[169:170], v[201:202], v[215:216]
	v_add_f64 v[171:172], v[209:210], v[217:218]
	v_add_f64 v[185:186], v[201:202], -v[215:216]
	v_add_f64 v[187:188], v[209:210], -v[217:218]
	v_add_f64 v[209:210], v[183:184], v[42:43]
	v_add_f64 v[215:216], v[179:180], -v[14:15]
	s_waitcnt lgkmcnt(1)
	v_fma_f64 v[217:218], v[219:220], -0.5, v[8:9]
	v_add_f64 v[195:196], v[225:226], v[223:224]
	v_add_f64 v[199:200], v[225:226], -v[223:224]
	v_add_f64 v[219:220], v[181:182], -v[40:41]
	v_fma_f64 v[223:224], v[229:230], -0.5, v[10:11]
	v_add_f64 v[193:194], v[207:208], v[205:206]
	v_add_f64 v[197:198], v[207:208], -v[205:206]
	v_add_f64 v[225:226], v[183:184], -v[42:43]
	v_fma_f64 v[221:222], v[221:222], -0.5, v[8:9]
	v_add_f64 v[201:202], v[231:232], v[213:214]
	v_add_f64 v[203:204], v[211:212], v[227:228]
	v_add_f64 v[205:206], v[231:232], -v[213:214]
	v_add_f64 v[207:208], v[211:212], -v[227:228]
	v_add_f64 v[211:212], v[177:178], -v[181:182]
	v_add_f64 v[213:214], v[177:178], -v[12:13]
	v_add_f64 v[227:228], v[12:13], -v[40:41]
	v_add_f64 v[229:230], v[60:61], v[157:158]
	v_add_f64 v[8:9], v[8:9], v[177:178]
	v_add_f64 v[177:178], v[179:180], -v[183:184]
	v_fma_f64 v[60:61], v[251:252], -0.5, v[60:61]
	v_fma_f64 v[209:210], v[209:210], -0.5, v[10:11]
	v_add_f64 v[10:11], v[10:11], v[179:180]
	v_fma_f64 v[231:232], v[215:216], s[4:5], v[217:218]
	v_add_f64 v[179:180], v[14:15], -v[42:43]
	v_fma_f64 v[62:63], v[253:254], -0.5, v[62:63]
	v_add_f64 v[251:252], v[173:174], -v[165:166]
	v_fma_f64 v[245:246], v[219:220], s[4:5], v[223:224]
	v_fma_f64 v[223:224], v[219:220], s[12:13], v[223:224]
	;; [unrolled: 1-line block ×3, first 2 shown]
	s_waitcnt lgkmcnt(0)
	v_fma_f64 v[249:250], v[225:226], s[12:13], v[221:222]
	v_fma_f64 v[221:222], v[225:226], s[4:5], v[221:222]
	s_barrier
	buffer_gl0_inv
	ds_write_b128 v73, v[16:19]
	ds_write_b128 v73, v[44:47] offset:80
	ds_write_b128 v73, v[52:55] offset:16
	;; [unrolled: 1-line block ×5, first 2 shown]
	v_add_f64 v[211:212], v[211:212], v[227:228]
	v_add_f64 v[229:230], v[229:230], v[161:162]
	;; [unrolled: 1-line block ×4, first 2 shown]
	v_fma_f64 v[112:113], v[108:109], s[12:13], v[60:61]
	v_fma_f64 v[227:228], v[213:214], s[12:13], v[209:210]
	v_add_f64 v[10:11], v[10:11], v[183:184]
	v_fma_f64 v[231:232], v[225:226], s[0:1], v[231:232]
	v_add_f64 v[177:178], v[177:178], v[179:180]
	v_fma_f64 v[183:184], v[104:105], s[4:5], v[235:236]
	v_fma_f64 v[60:61], v[108:109], s[4:5], v[60:61]
	;; [unrolled: 1-line block ×7, first 2 shown]
	v_add_f64 v[249:250], v[157:158], -v[161:162]
	v_fma_f64 v[221:222], v[215:216], s[10:11], v[221:222]
	v_add_f64 v[157:158], v[161:162], -v[157:158]
	v_add_f64 v[161:162], v[159:160], -v[163:164]
	;; [unrolled: 1-line block ×4, first 2 shown]
	v_add_f64 v[171:172], v[22:23], v[6:7]
	v_add_f64 v[165:166], v[229:230], v[165:166]
	;; [unrolled: 1-line block ×3, first 2 shown]
	ds_write_b128 v73, v[56:59] offset:96
	ds_write_b128 v73, v[185:188] offset:112
	;; [unrolled: 1-line block ×4, first 2 shown]
	v_fma_f64 v[112:113], v[104:105], s[0:1], v[112:113]
	v_fma_f64 v[179:180], v[219:220], s[10:11], v[227:228]
	v_add_f64 v[227:228], v[175:176], -v[167:168]
	v_fma_f64 v[181:182], v[211:212], s[6:7], v[231:232]
	v_add_f64 v[231:232], v[167:168], -v[175:176]
	v_add_f64 v[10:11], v[10:11], v[42:43]
	v_add_f64 v[167:168], v[233:234], v[167:168]
	v_fma_f64 v[243:244], v[241:242], s[6:7], v[243:244]
	v_fma_f64 v[223:224], v[241:242], s[6:7], v[223:224]
	;; [unrolled: 1-line block ×5, first 2 shown]
	v_add_f64 v[229:230], v[249:250], v[251:252]
	v_fma_f64 v[221:222], v[239:240], s[6:7], v[221:222]
	v_fma_f64 v[62:63], v[110:111], s[0:1], v[62:63]
	v_add_f64 v[185:186], v[64:65], v[24:25]
	v_add_f64 v[187:188], v[66:67], v[26:27]
	;; [unrolled: 1-line block ×3, first 2 shown]
	v_add_f64 v[195:196], v[28:29], -v[32:33]
	v_add_f64 v[16:17], v[165:166], v[173:174]
	v_add_f64 v[8:9], v[8:9], v[12:13]
	;; [unrolled: 1-line block ×3, first 2 shown]
	v_add_f64 v[197:198], v[36:37], -v[48:49]
	v_fma_f64 v[40:41], v[177:178], s[6:7], v[179:180]
	v_fma_f64 v[179:180], v[108:109], s[0:1], v[183:184]
	v_mul_f64 v[42:43], v[181:182], s[14:15]
	v_add_f64 v[161:162], v[161:162], v[227:228]
	v_mul_f64 v[181:182], v[181:182], s[10:11]
	v_add_f64 v[159:160], v[159:160], v[231:232]
	v_mul_f64 v[163:164], v[243:244], s[4:5]
	v_fma_f64 v[183:184], v[247:248], s[10:11], v[253:254]
	v_mul_f64 v[233:234], v[223:224], s[6:7]
	v_add_f64 v[18:19], v[167:168], v[175:176]
	v_mul_f64 v[227:228], v[245:246], s[12:13]
	v_add_f64 v[10:11], v[10:11], v[14:15]
	;; [unrolled: 2-line block ×3, first 2 shown]
	v_add_f64 v[175:176], v[32:33], v[48:49]
	v_add_f64 v[199:200], v[34:35], -v[30:31]
	v_fma_f64 v[112:113], v[157:158], s[6:7], v[112:113]
	v_fma_f64 v[157:158], v[157:158], s[6:7], v[60:61]
	;; [unrolled: 1-line block ×3, first 2 shown]
	v_add_f64 v[12:13], v[16:17], v[8:9]
	v_add_f64 v[8:9], v[16:17], -v[8:9]
	v_fma_f64 v[110:111], v[110:111], s[4:5], v[237:238]
	v_add_f64 v[203:204], v[48:49], -v[36:37]
	v_fma_f64 v[44:45], v[229:230], s[6:7], v[179:180]
	v_fma_f64 v[42:43], v[40:41], s[0:1], v[42:43]
	v_add_f64 v[179:180], v[28:29], v[36:37]
	v_fma_f64 v[46:47], v[40:41], s[14:15], v[181:182]
	v_fma_f64 v[60:61], v[159:160], s[6:7], v[114:115]
	;; [unrolled: 1-line block ×5, first 2 shown]
	v_fma_f64 v[165:166], v[221:222], s[12:13], -v[233:234]
	v_fma_f64 v[163:164], v[243:244], s[6:7], v[227:228]
	v_add_f64 v[181:182], v[34:35], v[50:51]
	v_fma_f64 v[159:160], v[223:224], s[4:5], -v[231:232]
	v_add_f64 v[183:184], v[30:31], v[38:39]
	v_add_f64 v[14:15], v[18:19], v[10:11]
	v_add_f64 v[10:11], v[18:19], -v[10:11]
	v_add_f64 v[205:206], v[50:51], -v[38:39]
	v_add_f64 v[193:194], v[26:27], -v[22:23]
	v_fma_f64 v[104:105], v[108:109], s[10:11], v[104:105]
	v_mul_i32_i24_e32 v73, 10, v106
	v_mov_b32_e32 v118, 0x3c0
	v_fma_f64 v[108:109], v[247:248], s[0:1], v[110:111]
	v_mov_b32_e32 v89, 4
	v_add_f64 v[16:17], v[44:45], v[42:43]
	v_add_f64 v[40:41], v[44:45], -v[42:43]
	v_lshl_add_u32 v73, v73, 4, 0
	v_add_f64 v[44:45], v[112:113], v[52:53]
	v_add_f64 v[52:53], v[112:113], -v[52:53]
	v_add_f64 v[112:113], v[189:190], v[28:29]
	v_add_f64 v[18:19], v[54:55], v[46:47]
	v_add_f64 v[42:43], v[54:55], -v[46:47]
	v_add_f64 v[46:47], v[60:61], v[163:164]
	v_add_f64 v[54:55], v[60:61], -v[163:164]
	v_add_f64 v[60:61], v[157:158], v[159:160]
	v_add_f64 v[62:63], v[114:115], v[165:166]
	v_add_f64 v[56:57], v[157:158], -v[159:160]
	v_add_f64 v[58:59], v[114:115], -v[165:166]
	v_fma_f64 v[114:115], v[167:168], -0.5, v[64:65]
	v_fma_f64 v[64:65], v[169:170], -0.5, v[64:65]
	;; [unrolled: 1-line block ×5, first 2 shown]
	v_add_f64 v[163:164], v[30:31], -v[38:39]
	v_fma_f64 v[165:166], v[179:180], -0.5, v[189:190]
	v_fma_f64 v[167:168], v[181:182], -0.5, v[191:192]
	v_fma_f64 v[169:170], v[215:216], s[12:13], v[217:218]
	v_add_f64 v[173:174], v[191:192], v[30:31]
	v_add_f64 v[175:176], v[32:33], -v[48:49]
	v_add_f64 v[179:180], v[34:35], -v[50:51]
	v_fma_f64 v[189:190], v[213:214], s[4:5], v[209:210]
	v_add_f64 v[112:113], v[112:113], v[32:33]
	v_add_f64 v[32:33], v[32:33], -v[28:29]
	v_add_f64 v[28:29], v[28:29], -v[36:37]
	v_fma_f64 v[171:172], v[183:184], -0.5, v[191:192]
	v_add_f64 v[30:31], v[30:31], -v[34:35]
	v_add_f64 v[181:182], v[185:186], v[20:21]
	v_add_f64 v[183:184], v[187:188], v[22:23]
	v_add_f64 v[185:186], v[22:23], -v[6:7]
	v_add_f64 v[187:188], v[24:25], -v[20:21]
	;; [unrolled: 1-line block ×7, first 2 shown]
	v_fma_f64 v[201:202], v[163:164], s[4:5], v[159:160]
	v_fma_f64 v[108:109], v[161:162], s[6:7], v[108:109]
	;; [unrolled: 1-line block ×4, first 2 shown]
	v_add_f64 v[173:174], v[173:174], v[34:35]
	v_fma_f64 v[34:35], v[163:164], s[12:13], v[159:160]
	v_fma_f64 v[209:210], v[179:180], s[12:13], v[165:166]
	;; [unrolled: 1-line block ×4, first 2 shown]
	v_add_f64 v[48:49], v[112:113], v[48:49]
	v_add_f64 v[112:113], v[38:39], -v[50:51]
	v_add_f64 v[159:160], v[195:196], v[197:198]
	v_fma_f64 v[195:196], v[28:29], s[4:5], v[167:168]
	v_fma_f64 v[207:208], v[175:176], s[4:5], v[171:172]
	;; [unrolled: 1-line block ×4, first 2 shown]
	v_add_f64 v[32:33], v[32:33], v[203:204]
	ds_write_b128 v73, v[12:15]
	v_mul_lo_u16 v12, 0xcd, v75
	ds_write_b128 v73, v[16:19] offset:16
	ds_write_b128 v73, v[44:47] offset:32
	;; [unrolled: 1-line block ×3, first 2 shown]
	v_mul_i32_i24_e32 v13, 10, v103
	v_lshl_add_u32 v75, v148, 4, 0
	v_fma_f64 v[197:198], v[179:180], s[0:1], v[201:202]
	v_lshrrev_b16 v81, 11, v12
	v_mad_i32_i24 v85, 0xffffff70, v106, v73
	v_fma_f64 v[110:111], v[211:212], s[6:7], v[169:170]
	v_add_f64 v[169:170], v[199:200], v[205:206]
	v_fma_f64 v[34:35], v[179:180], s[10:11], v[34:35]
	v_fma_f64 v[201:202], v[163:164], s[0:1], v[209:210]
	;; [unrolled: 1-line block ×4, first 2 shown]
	v_add_f64 v[50:51], v[173:174], v[50:51]
	v_add_f64 v[30:31], v[30:31], v[112:113]
	;; [unrolled: 1-line block ×3, first 2 shown]
	v_fma_f64 v[112:113], v[175:176], s[0:1], v[195:196]
	v_fma_f64 v[199:200], v[28:29], s[10:11], v[207:208]
	v_fma_f64 v[28:29], v[28:29], s[0:1], v[171:172]
	v_add_f64 v[173:174], v[183:184], v[6:7]
	v_add_f64 v[181:182], v[0:1], -v[4:5]
	v_add_f64 v[171:172], v[2:3], -v[6:7]
	v_fma_f64 v[167:168], v[175:176], s[10:11], v[167:168]
	v_fma_f64 v[179:180], v[26:27], s[4:5], v[114:115]
	;; [unrolled: 1-line block ×7, first 2 shown]
	v_mul_f64 v[161:162], v[110:111], s[14:15]
	v_fma_f64 v[157:158], v[24:25], s[4:5], v[157:158]
	v_fma_f64 v[34:35], v[159:160], s[6:7], v[34:35]
	;; [unrolled: 1-line block ×4, first 2 shown]
	v_mul_f64 v[163:164], v[177:178], s[14:15]
	v_add_f64 v[4:5], v[4:5], -v[0:1]
	v_add_f64 v[6:7], v[6:7], -v[2:3]
	v_add_f64 v[0:1], v[165:166], v[0:1]
	v_fma_f64 v[112:113], v[30:31], s[6:7], v[112:113]
	v_fma_f64 v[189:190], v[169:170], s[6:7], v[199:200]
	;; [unrolled: 1-line block ×5, first 2 shown]
	v_add_f64 v[169:170], v[187:188], v[181:182]
	v_add_f64 v[159:160], v[193:194], v[171:172]
	v_fma_f64 v[30:31], v[30:31], s[6:7], v[167:168]
	v_add_f64 v[2:3], v[173:174], v[2:3]
	v_fma_f64 v[114:115], v[185:186], s[10:11], v[114:115]
	v_mul_f64 v[167:168], v[175:176], s[14:15]
	v_mul_f64 v[171:172], v[175:176], s[10:11]
	v_fma_f64 v[175:176], v[185:186], s[0:1], v[179:180]
	v_fma_f64 v[179:180], v[20:21], s[10:11], v[183:184]
	;; [unrolled: 1-line block ×3, first 2 shown]
	v_fma_f64 v[161:162], v[177:178], s[0:1], -v[161:162]
	v_mul_f64 v[181:182], v[195:196], s[12:13]
	v_fma_f64 v[26:27], v[26:27], s[10:11], v[64:65]
	v_mul_f64 v[64:65], v[32:33], s[6:7]
	v_fma_f64 v[110:111], v[110:111], s[10:11], -v[163:164]
	v_mul_f64 v[163:164], v[34:35], s[14:15]
	v_fma_f64 v[20:21], v[20:21], s[0:1], v[157:158]
	v_mul_f64 v[157:158], v[112:113], s[14:15]
	v_add_f64 v[4:5], v[191:192], v[4:5]
	v_add_f64 v[6:7], v[22:23], v[6:7]
	v_mul_f64 v[22:23], v[189:190], s[4:5]
	v_fma_f64 v[187:188], v[24:25], s[10:11], v[199:200]
	v_fma_f64 v[66:67], v[24:25], s[0:1], v[66:67]
	v_mul_f64 v[177:178], v[28:29], s[6:7]
	v_add_f64 v[36:37], v[48:49], v[36:37]
	v_add_f64 v[38:39], v[50:51], v[38:39]
	v_fma_f64 v[114:115], v[169:170], s[6:7], v[114:115]
	v_fma_f64 v[48:49], v[30:31], s[0:1], v[167:168]
	;; [unrolled: 1-line block ×5, first 2 shown]
	v_lshl_add_u32 v77, v13, 4, 0
	v_add_f64 v[24:25], v[104:105], v[161:162]
	v_fma_f64 v[171:172], v[189:190], s[6:7], v[181:182]
	v_fma_f64 v[181:182], v[28:29], s[4:5], -v[64:65]
	v_add_f64 v[28:29], v[104:105], -v[161:162]
	v_fma_f64 v[112:113], v[112:113], s[0:1], -v[163:164]
	v_fma_f64 v[104:105], v[159:160], s[6:7], v[20:21]
	v_fma_f64 v[169:170], v[34:35], s[10:11], -v[157:158]
	v_fma_f64 v[173:174], v[4:5], s[6:7], v[183:184]
	v_fma_f64 v[179:180], v[4:5], s[6:7], v[26:27]
	;; [unrolled: 1-line block ×5, first 2 shown]
	v_fma_f64 v[177:178], v[32:33], s[12:13], -v[177:178]
	v_add_f64 v[26:27], v[108:109], v[110:111]
	v_add_f64 v[32:33], v[0:1], v[36:37]
	;; [unrolled: 1-line block ×3, first 2 shown]
	v_add_f64 v[0:1], v[0:1], -v[36:37]
	v_add_f64 v[2:3], v[2:3], -v[38:39]
	v_add_f64 v[36:37], v[165:166], v[48:49]
	v_add_f64 v[38:39], v[167:168], v[50:51]
	v_add_f64 v[4:5], v[165:166], -v[48:49]
	v_add_f64 v[6:7], v[167:168], -v[50:51]
	;; [unrolled: 1-line block ×3, first 2 shown]
	ds_write_b128 v73, v[24:27] offset:64
	ds_write_b128 v73, v[8:11] offset:80
	;; [unrolled: 1-line block ×3, first 2 shown]
	v_add_f64 v[161:162], v[114:115], v[112:113]
	v_add_f64 v[163:164], v[104:105], v[169:170]
	;; [unrolled: 1-line block ×6, first 2 shown]
	v_add_f64 v[20:21], v[173:174], -v[22:23]
	v_add_f64 v[22:23], v[175:176], -v[171:172]
	;; [unrolled: 1-line block ×6, first 2 shown]
	v_mul_lo_u16 v8, v81, 10
	ds_write_b128 v73, v[52:55] offset:112
	ds_write_b128 v73, v[56:59] offset:128
	;; [unrolled: 1-line block ×3, first 2 shown]
	ds_write_b128 v77, v[32:35]
	ds_write_b128 v77, v[36:39] offset:16
	ds_write_b128 v77, v[48:51] offset:32
	;; [unrolled: 1-line block ×3, first 2 shown]
	v_sub_nc_u16 v83, v70, v8
	ds_write_b128 v77, v[161:164] offset:64
	ds_write_b128 v77, v[0:3] offset:80
	;; [unrolled: 1-line block ×3, first 2 shown]
	v_mul_lo_u16 v0, 0xcd, v93
	ds_write_b128 v77, v[20:23] offset:112
	ds_write_b128 v77, v[157:160] offset:128
	v_mul_u32_u24_sdwa v8, v83, v91 dst_sel:DWORD dst_unused:UNUSED_PAD src0_sel:BYTE_0 src1_sel:DWORD
	v_lshrrev_b16 v141, 11, v0
	ds_write_b128 v77, v[165:168] offset:144
	s_waitcnt lgkmcnt(0)
	s_barrier
	v_lshlrev_b32_e32 v1, 4, v8
	buffer_gl0_inv
	v_mul_lo_u16 v0, v141, 10
	s_mov_b32 s4, 0xe8584caa
	s_mov_b32 s5, 0x3febb67a
	s_clause 0x2
	global_load_dwordx4 v[44:47], v1, s[8:9]
	global_load_dwordx4 v[52:55], v1, s[8:9] offset:16
	global_load_dwordx4 v[40:43], v1, s[8:9] offset:32
	v_sub_nc_u16 v139, v106, v0
	s_clause 0x1
	global_load_dwordx4 v[36:39], v1, s[8:9] offset:48
	global_load_dwordx4 v[32:35], v1, s[8:9] offset:64
	v_mov_b32_e32 v1, 0xcccd
	s_mov_b32 s7, 0xbfebb67a
	v_mul_u32_u24_sdwa v0, v139, v91 dst_sel:DWORD dst_unused:UNUSED_PAD src0_sel:BYTE_0 src1_sel:DWORD
	s_mov_b32 s6, s4
	v_mad_i32_i24 v87, 0xffffff70, v103, v77
	v_mul_u32_u24_sdwa v2, v103, v1 dst_sel:DWORD dst_unused:UNUSED_PAD src0_sel:WORD_0 src1_sel:DWORD
	v_cmp_gt_u32_e64 s0, 60, v70
	v_lshlrev_b32_e32 v0, 4, v0
	s_add_u32 s1, s8, 0xb360
	v_lshrrev_b32_e32 v135, 19, v2
	s_clause 0x3
	global_load_dwordx4 v[60:63], v0, s[8:9]
	global_load_dwordx4 v[157:160], v0, s[8:9] offset:16
	global_load_dwordx4 v[161:164], v0, s[8:9] offset:32
	;; [unrolled: 1-line block ×3, first 2 shown]
	v_mul_lo_u16 v2, v135, 10
	v_sub_nc_u16 v137, v103, v2
	v_mul_u32_u24_sdwa v2, v137, v91 dst_sel:DWORD dst_unused:UNUSED_PAD src0_sel:WORD_0 src1_sel:DWORD
	v_lshlrev_b32_e32 v2, 4, v2
	s_clause 0x1
	global_load_dwordx4 v[48:51], v0, s[8:9] offset:64
	global_load_dwordx4 v[56:59], v2, s[8:9]
	v_mul_u32_u24_sdwa v0, v150, v1 dst_sel:DWORD dst_unused:UNUSED_PAD src0_sel:WORD_0 src1_sel:DWORD
	s_clause 0x2
	global_load_dwordx4 v[171:174], v2, s[8:9] offset:16
	global_load_dwordx4 v[179:182], v2, s[8:9] offset:32
	;; [unrolled: 1-line block ×3, first 2 shown]
	v_mul_u32_u24_sdwa v1, v154, v1 dst_sel:DWORD dst_unused:UNUSED_PAD src0_sel:WORD_0 src1_sel:DWORD
	v_lshrrev_b32_e32 v99, 19, v0
	v_lshrrev_b32_e32 v95, 19, v1
	v_mul_lo_u16 v0, v99, 10
	v_sub_nc_u16 v101, v150, v0
	v_mul_u32_u24_sdwa v0, v101, v91 dst_sel:DWORD dst_unused:UNUSED_PAD src0_sel:WORD_0 src1_sel:DWORD
	v_lshlrev_b32_e32 v0, 4, v0
	s_clause 0x5
	global_load_dwordx4 v[187:190], v2, s[8:9] offset:64
	global_load_dwordx4 v[191:194], v0, s[8:9]
	global_load_dwordx4 v[195:198], v0, s[8:9] offset:16
	global_load_dwordx4 v[199:202], v0, s[8:9] offset:32
	;; [unrolled: 1-line block ×4, first 2 shown]
	v_mul_lo_u16 v0, v95, 10
	v_sub_nc_u16 v97, v154, v0
	v_mul_u32_u24_sdwa v0, v97, v91 dst_sel:DWORD dst_unused:UNUSED_PAD src0_sel:WORD_0 src1_sel:DWORD
	v_lshlrev_b32_e32 v16, 4, v0
	s_clause 0x4
	global_load_dwordx4 v[0:3], v16, s[8:9]
	global_load_dwordx4 v[4:7], v16, s[8:9] offset:16
	global_load_dwordx4 v[8:11], v16, s[8:9] offset:32
	;; [unrolled: 1-line block ×4, first 2 shown]
	ds_read_b128 v[64:67], v79
	ds_read_b128 v[175:178], v75
	ds_read_b128 v[211:214], v125 offset:23040
	ds_read_b128 v[215:218], v125 offset:30720
	;; [unrolled: 1-line block ×9, first 2 shown]
	ds_read_b128 v[239:242], v125
	s_waitcnt vmcnt(23) lgkmcnt(10)
	v_mul_f64 v[104:105], v[177:178], v[54:55]
	v_mul_f64 v[28:29], v[66:67], v[46:47]
	;; [unrolled: 1-line block ×3, first 2 shown]
	s_waitcnt vmcnt(22) lgkmcnt(9)
	v_mul_f64 v[108:109], v[213:214], v[42:43]
	v_mul_f64 v[110:111], v[211:212], v[42:43]
	s_waitcnt vmcnt(20) lgkmcnt(7)
	v_mul_f64 v[155:156], v[221:222], v[34:35]
	v_mul_f64 v[169:170], v[219:220], v[34:35]
	;; [unrolled: 1-line block ×5, first 2 shown]
	s_waitcnt vmcnt(19) lgkmcnt(4)
	v_mul_f64 v[243:244], v[225:226], v[62:63]
	s_waitcnt vmcnt(18)
	v_mul_f64 v[247:248], v[229:230], v[159:160]
	v_mul_f64 v[159:160], v[227:228], v[159:160]
	;; [unrolled: 1-line block ×3, first 2 shown]
	v_fma_f64 v[104:105], v[175:176], v[52:53], -v[104:105]
	v_fma_f64 v[245:246], v[64:65], v[44:45], -v[28:29]
	v_fma_f64 v[249:250], v[66:67], v[44:45], v[46:47]
	ds_read_b128 v[42:45], v125 offset:39936
	v_fma_f64 v[108:109], v[211:212], v[40:41], -v[108:109]
	v_fma_f64 v[110:111], v[213:214], v[40:41], v[110:111]
	ds_read_b128 v[38:41], v125 offset:10752
	s_waitcnt vmcnt(17) lgkmcnt(3)
	v_mul_f64 v[46:47], v[237:238], v[163:164]
	v_mul_f64 v[66:67], v[235:236], v[163:164]
	v_fma_f64 v[253:254], v[219:220], v[32:33], -v[155:156]
	v_fma_f64 v[116:117], v[221:222], v[32:33], v[169:170]
	s_waitcnt vmcnt(16)
	v_mul_f64 v[32:33], v[233:234], v[167:168]
	v_mul_f64 v[163:164], v[231:232], v[167:168]
	ds_read_b128 v[28:31], v125 offset:13824
	v_fma_f64 v[251:252], v[177:178], v[52:53], v[54:55]
	v_fma_f64 v[112:113], v[215:216], v[36:37], -v[112:113]
	v_fma_f64 v[114:115], v[217:218], v[36:37], v[114:115]
	ds_read_b128 v[34:37], v125 offset:18432
	ds_read_b128 v[211:214], v125 offset:26112
	;; [unrolled: 1-line block ×3, first 2 shown]
	v_fma_f64 v[52:53], v[227:228], v[157:158], -v[247:248]
	v_fma_f64 v[54:55], v[229:230], v[157:158], v[159:160]
	v_fma_f64 v[64:65], v[223:224], v[60:61], -v[243:244]
	v_fma_f64 v[60:61], v[225:226], v[60:61], v[62:63]
	s_waitcnt vmcnt(15) lgkmcnt(5)
	v_mul_f64 v[157:158], v[44:45], v[50:51]
	v_mul_f64 v[50:51], v[42:43], v[50:51]
	ds_read_b128 v[219:222], v125 offset:41472
	s_waitcnt vmcnt(14) lgkmcnt(5)
	v_mul_f64 v[159:160], v[40:41], v[58:59]
	v_mul_f64 v[169:170], v[38:39], v[58:59]
	ds_read_b128 v[223:226], v125 offset:12288
	v_fma_f64 v[155:156], v[235:236], v[161:162], -v[46:47]
	v_fma_f64 v[66:67], v[237:238], v[161:162], v[66:67]
	ds_read_b128 v[235:238], v125 offset:35328
	ds_read_b128 v[227:230], v125 offset:19968
	v_fma_f64 v[62:63], v[231:232], v[165:166], -v[32:33]
	v_fma_f64 v[58:59], v[233:234], v[165:166], v[163:164]
	v_add_f64 v[32:33], v[108:109], v[253:254]
	s_waitcnt vmcnt(13) lgkmcnt(6)
	v_mul_f64 v[243:244], v[36:37], v[173:174]
	v_mul_f64 v[173:174], v[34:35], v[173:174]
	s_waitcnt vmcnt(12) lgkmcnt(5)
	v_mul_f64 v[247:248], v[213:214], v[181:182]
	v_mul_f64 v[46:47], v[211:212], v[181:182]
	;; [unrolled: 3-line block ×3, first 2 shown]
	v_add_f64 v[163:164], v[110:111], v[116:117]
	ds_read_b128 v[231:234], v125 offset:43008
	v_fma_f64 v[177:178], v[42:43], v[48:49], -v[157:158]
	v_fma_f64 v[175:176], v[44:45], v[48:49], v[50:51]
	ds_read_b128 v[42:45], v125 offset:27648
	v_fma_f64 v[167:168], v[38:39], v[56:57], -v[159:160]
	v_fma_f64 v[169:170], v[40:41], v[56:57], v[169:170]
	s_waitcnt vmcnt(8) lgkmcnt(2)
	v_mul_f64 v[50:51], v[227:228], v[197:198]
	v_fma_f64 v[159:160], v[34:35], v[171:172], -v[243:244]
	v_fma_f64 v[161:162], v[36:37], v[171:172], v[173:174]
	v_fma_f64 v[171:172], v[211:212], v[179:180], -v[247:248]
	v_mul_f64 v[34:35], v[221:222], v[189:190]
	v_mul_f64 v[36:37], v[219:220], v[189:190]
	v_fma_f64 v[173:174], v[213:214], v[179:180], v[46:47]
	v_fma_f64 v[157:158], v[215:216], v[183:184], -v[181:182]
	v_fma_f64 v[56:57], v[217:218], v[183:184], v[185:186]
	v_add_f64 v[189:190], v[108:109], -v[253:254]
	v_fma_f64 v[46:47], v[32:33], -0.5, v[245:246]
	v_add_f64 v[211:212], v[110:111], -v[116:117]
	v_mul_f64 v[32:33], v[229:230], v[197:198]
	s_waitcnt vmcnt(7) lgkmcnt(0)
	v_mul_f64 v[197:198], v[44:45], v[201:202]
	ds_read_b128 v[183:186], v125 offset:44544
	v_mul_f64 v[38:39], v[225:226], v[193:194]
	v_mul_f64 v[40:41], v[223:224], v[193:194]
	v_fma_f64 v[193:194], v[163:164], -0.5, v[249:250]
	v_mul_f64 v[201:202], v[42:43], v[201:202]
	s_waitcnt vmcnt(6)
	v_mul_f64 v[213:214], v[237:238], v[205:206]
	v_mul_f64 v[205:206], v[235:236], v[205:206]
	s_waitcnt vmcnt(5)
	v_mul_f64 v[215:216], v[233:234], v[209:210]
	v_mul_f64 v[209:210], v[231:232], v[209:210]
	v_add_f64 v[217:218], v[251:252], v[114:115]
	v_add_f64 v[110:111], v[249:250], v[110:111]
	ds_read_b128 v[179:182], v125 offset:29184
	v_fma_f64 v[163:164], v[219:220], v[187:188], -v[34:35]
	v_fma_f64 v[165:166], v[221:222], v[187:188], v[36:37]
	v_add_f64 v[187:188], v[104:105], v[112:113]
	v_fma_f64 v[36:37], v[229:230], v[195:196], v[50:51]
	v_add_f64 v[108:109], v[245:246], v[108:109]
	v_fma_f64 v[221:222], v[211:212], s[4:5], v[46:47]
	v_fma_f64 v[32:33], v[227:228], v[195:196], -v[32:33]
	v_fma_f64 v[50:51], v[42:43], v[199:200], -v[197:198]
	s_waitcnt vmcnt(4)
	v_mul_f64 v[197:198], v[30:31], v[2:3]
	v_fma_f64 v[48:49], v[223:224], v[191:192], -v[38:39]
	v_fma_f64 v[38:39], v[225:226], v[191:192], v[40:41]
	v_fma_f64 v[219:220], v[189:190], s[6:7], v[193:194]
	;; [unrolled: 1-line block ×4, first 2 shown]
	v_add_f64 v[193:194], v[239:240], v[104:105]
	v_add_f64 v[195:196], v[241:242], v[251:252]
	v_fma_f64 v[42:43], v[44:45], v[199:200], v[201:202]
	v_fma_f64 v[44:45], v[235:236], v[203:204], -v[213:214]
	v_fma_f64 v[40:41], v[237:238], v[203:204], v[205:206]
	v_fma_f64 v[46:47], v[231:232], v[207:208], -v[215:216]
	v_fma_f64 v[34:35], v[233:234], v[207:208], v[209:210]
	v_mul_f64 v[2:3], v[28:29], v[2:3]
	s_waitcnt vmcnt(3)
	v_mul_f64 v[199:200], v[22:23], v[6:7]
	v_fma_f64 v[187:188], v[187:188], -0.5, v[239:240]
	v_fma_f64 v[201:202], v[217:218], -0.5, v[241:242]
	v_add_f64 v[207:208], v[251:252], -v[114:115]
	v_add_f64 v[104:105], v[104:105], -v[112:113]
	s_waitcnt vmcnt(2) lgkmcnt(0)
	v_mul_f64 v[209:210], v[181:182], v[10:11]
	v_mul_f64 v[10:11], v[179:180], v[10:11]
	s_waitcnt vmcnt(1)
	v_mul_f64 v[213:214], v[26:27], v[14:15]
	v_mul_f64 v[14:15], v[24:25], v[14:15]
	v_add_f64 v[110:111], v[110:111], v[116:117]
	v_add_f64 v[116:117], v[66:67], v[175:176]
	v_mul_f64 v[203:204], v[219:220], s[4:5]
	v_mul_f64 v[211:212], v[191:192], -0.5
	v_mul_f64 v[217:218], v[189:190], -0.5
	v_add_f64 v[112:113], v[193:194], v[112:113]
	v_fma_f64 v[193:194], v[28:29], v[0:1], -v[197:198]
	v_add_f64 v[28:29], v[155:156], v[177:178]
	v_mul_f64 v[205:206], v[221:222], s[6:7]
	v_mul_f64 v[6:7], v[20:21], v[6:7]
	v_add_f64 v[108:109], v[108:109], v[253:254]
	v_add_f64 v[114:115], v[195:196], v[114:115]
	s_waitcnt vmcnt(0)
	v_mul_f64 v[215:216], v[185:186], v[18:19]
	v_mul_f64 v[18:19], v[183:184], v[18:19]
	v_fma_f64 v[197:198], v[20:21], v[4:5], -v[199:200]
	v_fma_f64 v[195:196], v[30:31], v[0:1], v[2:3]
	v_fma_f64 v[199:200], v[207:208], s[4:5], v[187:188]
	v_fma_f64 v[209:210], v[179:180], v[8:9], -v[209:210]
	v_fma_f64 v[179:180], v[207:208], s[6:7], v[187:188]
	v_fma_f64 v[207:208], v[24:25], v[12:13], -v[213:214]
	v_add_f64 v[213:214], v[173:174], -v[165:166]
	v_fma_f64 v[116:117], v[116:117], -0.5, v[60:61]
	v_fma_f64 v[20:21], v[221:222], 0.5, v[203:204]
	v_fma_f64 v[203:204], v[104:105], s[6:7], v[201:202]
	v_fma_f64 v[187:188], v[189:190], s[4:5], v[211:212]
	;; [unrolled: 1-line block ×6, first 2 shown]
	v_add_f64 v[181:182], v[155:156], -v[177:178]
	v_fma_f64 v[191:192], v[28:29], -0.5, v[64:65]
	v_add_f64 v[201:202], v[66:67], -v[175:176]
	v_fma_f64 v[30:31], v[219:220], 0.5, v[205:206]
	v_fma_f64 v[205:206], v[22:23], v[4:5], v[6:7]
	v_add_f64 v[0:1], v[112:113], v[108:109]
	v_add_f64 v[4:5], v[112:113], -v[108:109]
	v_add_f64 v[108:109], v[171:172], v[163:164]
	v_add_f64 v[2:3], v[114:115], v[110:111]
	v_add_f64 v[6:7], v[114:115], -v[110:111]
	v_add_f64 v[110:111], v[173:174], v[165:166]
	v_fma_f64 v[183:184], v[183:184], v[16:17], -v[215:216]
	v_fma_f64 v[185:186], v[185:186], v[16:17], v[18:19]
	ds_read_b128 v[16:19], v85
	v_mul_u32_u24_sdwa v28, v81, v118 dst_sel:DWORD dst_unused:UNUSED_PAD src0_sel:WORD_0 src1_sel:DWORD
	v_add_f64 v[8:9], v[199:200], v[20:21]
	v_add_f64 v[12:13], v[199:200], -v[20:21]
	v_add_f64 v[20:21], v[179:180], v[187:188]
	v_add_f64 v[24:25], v[179:180], -v[187:188]
	v_add_f64 v[187:188], v[54:55], v[58:59]
	v_lshlrev_b32_sdwa v29, v89, v83 dst_sel:DWORD dst_unused:UNUSED_PAD src0_sel:DWORD src1_sel:BYTE_0
	v_add_f64 v[22:23], v[26:27], v[104:105]
	v_add_f64 v[26:27], v[26:27], -v[104:105]
	v_add_f64 v[104:105], v[64:65], v[155:156]
	v_fma_f64 v[112:113], v[181:182], s[6:7], v[116:117]
	v_fma_f64 v[114:115], v[201:202], s[4:5], v[191:192]
	v_add_f64 v[155:156], v[52:53], v[62:63]
	v_fma_f64 v[191:192], v[201:202], s[6:7], v[191:192]
	v_add_f64 v[10:11], v[203:204], v[30:31]
	v_fma_f64 v[116:117], v[181:182], s[4:5], v[116:117]
	v_fma_f64 v[108:109], v[108:109], -0.5, v[167:168]
	v_add_f64 v[14:15], v[203:204], -v[30:31]
	v_add3_u32 v119, 0, v28, v29
	ds_read_b128 v[28:31], v87
	s_waitcnt lgkmcnt(1)
	v_add_f64 v[199:200], v[16:17], v[52:53]
	v_lshl_add_u32 v83, v150, 4, 0
	v_fma_f64 v[110:111], v[110:111], -0.5, v[169:170]
	v_add_f64 v[203:204], v[171:172], -v[163:164]
	v_lshl_add_u32 v81, v154, 4, 0
	v_add_f64 v[60:61], v[60:61], v[66:67]
	v_add_f64 v[201:202], v[18:19], v[54:55]
	ds_read_b128 v[64:67], v83
	ds_read_b128 v[179:182], v81
	s_waitcnt lgkmcnt(0)
	s_barrier
	v_add_f64 v[104:105], v[104:105], v[177:178]
	v_mul_f64 v[177:178], v[112:113], s[4:5]
	v_mul_f64 v[215:216], v[114:115], s[6:7]
	v_fma_f64 v[16:17], v[155:156], -0.5, v[16:17]
	v_add_f64 v[54:55], v[54:55], -v[58:59]
	v_fma_f64 v[18:19], v[187:188], -0.5, v[18:19]
	v_add_f64 v[52:53], v[52:53], -v[62:63]
	buffer_gl0_inv
	ds_write_b128 v119, v[0:3]
	ds_write_b128 v119, v[8:11] offset:160
	v_mul_f64 v[2:3], v[191:192], -0.5
	v_mul_f64 v[8:9], v[116:117], -0.5
	ds_write_b128 v119, v[20:23] offset:320
	ds_write_b128 v119, v[4:7] offset:480
	v_fma_f64 v[22:23], v[213:214], s[4:5], v[108:109]
	v_add_f64 v[62:63], v[199:200], v[62:63]
	v_fma_f64 v[20:21], v[203:204], s[6:7], v[110:111]
	v_add_f64 v[4:5], v[159:160], v[157:158]
	ds_write_b128 v119, v[12:15] offset:640
	ds_write_b128 v119, v[24:27] offset:800
	v_add_f64 v[12:13], v[161:162], v[56:57]
	v_add_f64 v[6:7], v[60:61], v[175:176]
	v_fma_f64 v[26:27], v[213:214], s[6:7], v[108:109]
	v_fma_f64 v[60:61], v[203:204], s[4:5], v[110:111]
	v_add_f64 v[10:11], v[201:202], v[58:59]
	v_add_f64 v[155:156], v[169:170], v[173:174]
	v_fma_f64 v[14:15], v[114:115], 0.5, v[177:178]
	v_fma_f64 v[24:25], v[112:113], 0.5, v[215:216]
	v_add_f64 v[114:115], v[30:31], v[161:162]
	v_fma_f64 v[58:59], v[54:55], s[4:5], v[16:17]
	v_fma_f64 v[54:55], v[54:55], s[6:7], v[16:17]
	;; [unrolled: 1-line block ×3, first 2 shown]
	v_add_f64 v[16:17], v[28:29], v[159:160]
	v_fma_f64 v[52:53], v[52:53], s[4:5], v[18:19]
	v_fma_f64 v[110:111], v[116:117], s[4:5], v[2:3]
	v_add_f64 v[116:117], v[167:168], v[171:172]
	v_fma_f64 v[112:113], v[191:192], s[6:7], v[8:9]
	v_mul_f64 v[169:170], v[22:23], s[6:7]
	v_add_f64 v[0:1], v[62:63], v[104:105]
	v_mul_f64 v[167:168], v[20:21], s[4:5]
	v_fma_f64 v[28:29], v[4:5], -0.5, v[28:29]
	v_add_f64 v[161:162], v[161:162], -v[56:57]
	v_add_f64 v[4:5], v[62:63], -v[104:105]
	v_fma_f64 v[30:31], v[12:13], -0.5, v[30:31]
	v_add_f64 v[62:63], v[159:160], -v[157:158]
	v_mul_f64 v[104:105], v[26:27], -0.5
	v_mul_f64 v[159:160], v[60:61], -0.5
	v_add_f64 v[2:3], v[10:11], v[6:7]
	v_add_f64 v[6:7], v[10:11], -v[6:7]
	v_mul_u32_u24_sdwa v118, v141, v118 dst_sel:DWORD dst_unused:UNUSED_PAD src0_sel:WORD_0 src1_sel:DWORD
	v_add_f64 v[56:57], v[114:115], v[56:57]
	v_add_f64 v[8:9], v[58:59], v[14:15]
	v_add_f64 v[12:13], v[58:59], -v[14:15]
	v_add_f64 v[10:11], v[108:109], v[24:25]
	v_add_f64 v[14:15], v[108:109], -v[24:25]
	v_add_f64 v[24:25], v[16:17], v[157:158]
	v_add_f64 v[157:158], v[50:51], v[46:47]
	;; [unrolled: 1-line block ×7, first 2 shown]
	v_fma_f64 v[155:156], v[20:21], 0.5, v[169:170]
	v_lshlrev_b32_sdwa v20, v89, v139 dst_sel:DWORD dst_unused:UNUSED_PAD src0_sel:DWORD src1_sel:BYTE_0
	v_fma_f64 v[114:115], v[22:23], 0.5, v[167:168]
	v_fma_f64 v[163:164], v[161:162], s[4:5], v[28:29]
	v_fma_f64 v[28:29], v[161:162], s[6:7], v[28:29]
	;; [unrolled: 1-line block ×3, first 2 shown]
	v_add3_u32 v118, 0, v118, v20
	v_add_f64 v[20:21], v[54:55], -v[110:111]
	v_add_f64 v[22:23], v[52:53], -v[112:113]
	v_add_f64 v[52:53], v[189:190], v[185:186]
	v_add_f64 v[54:55], v[209:210], v[183:184]
	v_fma_f64 v[30:31], v[62:63], s[4:5], v[30:31]
	v_fma_f64 v[60:61], v[60:61], s[4:5], v[104:105]
	v_fma_f64 v[62:63], v[26:27], s[6:7], v[159:160]
	ds_write_b128 v118, v[0:3]
	ds_write_b128 v118, v[8:11] offset:160
	ds_write_b128 v118, v[16:19] offset:320
	;; [unrolled: 1-line block ×3, first 2 shown]
	v_add_f64 v[0:1], v[24:25], v[58:59]
	v_add_f64 v[4:5], v[24:25], -v[58:59]
	v_fma_f64 v[58:59], v[116:117], -0.5, v[38:39]
	v_add_f64 v[104:105], v[50:51], -v[46:47]
	v_fma_f64 v[110:111], v[157:158], -0.5, v[48:49]
	v_add_f64 v[112:113], v[42:43], -v[34:35]
	v_add_f64 v[2:3], v[56:57], v[108:109]
	v_mul_u32_u24_e32 v119, 0x3c0, v135
	v_lshlrev_b32_sdwa v135, v89, v137 dst_sel:DWORD dst_unused:UNUSED_PAD src0_sel:DWORD src1_sel:WORD_0
	v_add_f64 v[6:7], v[56:57], -v[108:109]
	v_add_f64 v[8:9], v[163:164], v[114:115]
	v_add_f64 v[10:11], v[161:162], v[155:156]
	v_fma_f64 v[52:53], v[52:53], -0.5, v[195:196]
	v_add_f64 v[56:57], v[209:210], -v[183:184]
	v_fma_f64 v[54:55], v[54:55], -0.5, v[193:194]
	v_add_f64 v[108:109], v[189:190], -v[185:186]
	v_add_f64 v[24:25], v[28:29], v[60:61]
	v_add_f64 v[26:27], v[30:31], v[62:63]
	ds_write_b128 v118, v[12:15] offset:640
	ds_write_b128 v118, v[20:23] offset:800
	v_add3_u32 v118, 0, v119, v135
	v_add_f64 v[16:17], v[163:164], -v[114:115]
	v_add_f64 v[18:19], v[161:162], -v[155:156]
	v_add_f64 v[114:115], v[32:33], v[44:45]
	v_add_f64 v[116:117], v[36:37], v[40:41]
	v_fma_f64 v[20:21], v[104:105], s[6:7], v[58:59]
	v_add_f64 v[155:156], v[64:65], v[32:33]
	v_fma_f64 v[22:23], v[112:113], s[4:5], v[110:111]
	v_add_f64 v[12:13], v[28:29], -v[60:61]
	ds_write_b128 v118, v[0:3]
	v_add_f64 v[0:1], v[48:49], v[50:51]
	v_fma_f64 v[2:3], v[112:113], s[6:7], v[110:111]
	v_fma_f64 v[28:29], v[104:105], s[4:5], v[58:59]
	v_add_f64 v[14:15], v[30:31], -v[62:63]
	v_add_f64 v[30:31], v[197:198], v[207:208]
	v_add_f64 v[48:49], v[205:206], v[211:212]
	ds_write_b128 v118, v[8:11] offset:160
	ds_write_b128 v118, v[24:27] offset:320
	;; [unrolled: 1-line block ×4, first 2 shown]
	v_fma_f64 v[4:5], v[56:57], s[6:7], v[52:53]
	v_fma_f64 v[6:7], v[108:109], s[4:5], v[54:55]
	v_add_f64 v[16:17], v[66:67], v[36:37]
	v_fma_f64 v[24:25], v[108:109], s[6:7], v[54:55]
	v_fma_f64 v[26:27], v[56:57], s[4:5], v[52:53]
	v_add_f64 v[38:39], v[38:39], v[42:43]
	v_fma_f64 v[8:9], v[114:115], -0.5, v[64:65]
	v_fma_f64 v[10:11], v[116:117], -0.5, v[66:67]
	v_mul_f64 v[42:43], v[20:21], s[4:5]
	v_mul_f64 v[50:51], v[22:23], s[6:7]
	v_add_f64 v[36:37], v[36:37], -v[40:41]
	v_add_f64 v[32:33], v[32:33], -v[44:45]
	v_add_f64 v[18:19], v[155:156], v[44:45]
	v_add_f64 v[44:45], v[0:1], v[46:47]
	v_mul_f64 v[46:47], v[2:3], -0.5
	v_mul_f64 v[52:53], v[28:29], -0.5
	v_add_f64 v[54:55], v[179:180], v[197:198]
	v_add_f64 v[58:59], v[193:194], v[209:210]
	v_fma_f64 v[30:31], v[30:31], -0.5, v[179:180]
	v_fma_f64 v[48:49], v[48:49], -0.5, v[181:182]
	v_add_f64 v[56:57], v[181:182], v[205:206]
	v_add_f64 v[60:61], v[195:196], v[189:190]
	v_mul_f64 v[62:63], v[4:5], s[4:5]
	v_mul_f64 v[64:65], v[6:7], s[6:7]
	v_add_f64 v[66:67], v[205:206], -v[211:212]
	v_add_f64 v[104:105], v[197:198], -v[207:208]
	ds_write_b128 v118, v[12:15] offset:800
	v_add_f64 v[12:13], v[16:17], v[40:41]
	v_mul_f64 v[14:15], v[24:25], -0.5
	v_mul_f64 v[16:17], v[26:27], -0.5
	v_add_f64 v[34:35], v[38:39], v[34:35]
	v_fma_f64 v[22:23], v[22:23], 0.5, v[42:43]
	v_fma_f64 v[20:21], v[20:21], 0.5, v[50:51]
	v_fma_f64 v[38:39], v[36:37], s[4:5], v[8:9]
	v_fma_f64 v[40:41], v[32:33], s[6:7], v[10:11]
	;; [unrolled: 1-line block ×6, first 2 shown]
	v_add_f64 v[46:47], v[54:55], v[207:208]
	v_add_f64 v[52:53], v[58:59], v[183:184]
	;; [unrolled: 1-line block ×5, first 2 shown]
	v_fma_f64 v[56:57], v[6:7], 0.5, v[62:63]
	v_fma_f64 v[58:59], v[4:5], 0.5, v[64:65]
	v_fma_f64 v[60:61], v[66:67], s[4:5], v[30:31]
	v_fma_f64 v[62:63], v[104:105], s[6:7], v[48:49]
	;; [unrolled: 1-line block ×6, first 2 shown]
	v_add_f64 v[2:3], v[12:13], v[34:35]
	v_add_f64 v[4:5], v[18:19], -v[44:45]
	v_mul_u32_u24_e32 v24, 0x3c0, v99
	v_add_f64 v[8:9], v[38:39], v[22:23]
	v_add_f64 v[10:11], v[40:41], v[20:21]
	v_lshlrev_b32_sdwa v25, v89, v101 dst_sel:DWORD dst_unused:UNUSED_PAD src0_sel:DWORD src1_sel:WORD_0
	v_subrev_nc_u32_e32 v45, 60, v70
	v_add_f64 v[16:17], v[36:37], v[28:29]
	v_add_f64 v[18:19], v[32:33], v[42:43]
	v_add_f64 v[14:15], v[40:41], -v[20:21]
	v_add_f64 v[20:21], v[36:37], -v[28:29]
	v_add3_u32 v44, 0, v24, v25
	v_add_f64 v[24:25], v[46:47], v[52:53]
	v_add_f64 v[28:29], v[46:47], -v[52:53]
	v_mul_u32_u24_e32 v46, 0x3c0, v95
	v_lshlrev_b32_sdwa v47, v89, v97 dst_sel:DWORD dst_unused:UNUSED_PAD src0_sel:DWORD src1_sel:WORD_0
	v_cndmask_b32_e64 v139, v45, v70, s0
	v_add_f64 v[6:7], v[12:13], -v[34:35]
	v_add_f64 v[12:13], v[38:39], -v[22:23]
	;; [unrolled: 1-line block ×3, first 2 shown]
	v_add_f64 v[26:27], v[50:51], v[54:55]
	v_add_f64 v[30:31], v[50:51], -v[54:55]
	v_add_f64 v[32:33], v[60:61], v[56:57]
	v_add_f64 v[34:35], v[62:63], v[58:59]
	;; [unrolled: 1-line block ×3, first 2 shown]
	v_add_f64 v[49:50], v[64:65], -v[48:49]
	v_add_f64 v[51:52], v[66:67], -v[104:105]
	v_add_f64 v[38:39], v[66:67], v[104:105]
	v_add_f64 v[40:41], v[60:61], -v[56:57]
	v_add_f64 v[42:43], v[62:63], -v[58:59]
	ds_write_b128 v44, v[0:3]
	ds_write_b128 v44, v[8:11] offset:160
	ds_write_b128 v44, v[16:19] offset:320
	v_add3_u32 v2, 0, v46, v47
	v_mul_i32_i24_e32 v47, 5, v139
	v_mov_b32_e32 v48, 0
	ds_write_b128 v44, v[4:7] offset:480
	ds_write_b128 v44, v[12:15] offset:640
	ds_write_b128 v44, v[20:23] offset:800
	ds_write_b128 v2, v[24:27]
	v_lshlrev_b64 v[0:1], 4, v[47:48]
	ds_write_b128 v2, v[32:35] offset:160
	ds_write_b128 v2, v[36:39] offset:320
	;; [unrolled: 1-line block ×4, first 2 shown]
	v_add_co_u32 v0, s0, s8, v0
	v_add_co_ci_u32_e64 v1, s0, s9, v1, s0
	ds_write_b128 v2, v[49:52] offset:800
	s_waitcnt lgkmcnt(0)
	s_barrier
	buffer_gl0_inv
	s_clause 0x1
	global_load_dwordx4 v[28:31], v[0:1], off offset:800
	global_load_dwordx4 v[49:52], v[0:1], off offset:816
	v_mul_lo_u16 v2, 0x89, v93
	s_clause 0x2
	global_load_dwordx4 v[32:35], v[0:1], off offset:832
	global_load_dwordx4 v[40:43], v[0:1], off offset:848
	;; [unrolled: 1-line block ×3, first 2 shown]
	v_mov_b32_e32 v1, 0x8889
	v_cmp_lt_u32_e64 s0, 59, v70
	v_lshrrev_b16 v99, 13, v2
	v_mul_lo_u16 v2, v99, 60
	v_sub_nc_u16 v101, v106, v2
	v_mul_u32_u24_sdwa v2, v101, v91 dst_sel:DWORD dst_unused:UNUSED_PAD src0_sel:BYTE_0 src1_sel:DWORD
	v_lshlrev_b32_sdwa v101, v89, v101 dst_sel:DWORD dst_unused:UNUSED_PAD src0_sel:DWORD src1_sel:BYTE_0
	v_lshlrev_b32_e32 v0, 4, v2
	v_mul_u32_u24_sdwa v2, v103, v1 dst_sel:DWORD dst_unused:UNUSED_PAD src0_sel:WORD_0 src1_sel:DWORD
	global_load_dwordx4 v[53:56], v0, s[8:9] offset:800
	v_lshrrev_b32_e32 v93, 21, v2
	s_clause 0x3
	global_load_dwordx4 v[57:60], v0, s[8:9] offset:816
	global_load_dwordx4 v[61:64], v0, s[8:9] offset:832
	;; [unrolled: 1-line block ×4, first 2 shown]
	v_mul_lo_u16 v2, v93, 60
	v_sub_nc_u16 v97, v103, v2
	v_mul_u32_u24_sdwa v2, v150, v1 dst_sel:DWORD dst_unused:UNUSED_PAD src0_sel:WORD_0 src1_sel:DWORD
	v_mul_u32_u24_sdwa v1, v154, v1 dst_sel:DWORD dst_unused:UNUSED_PAD src0_sel:WORD_0 src1_sel:DWORD
	v_mul_u32_u24_sdwa v0, v97, v91 dst_sel:DWORD dst_unused:UNUSED_PAD src0_sel:WORD_0 src1_sel:DWORD
	v_lshrrev_b32_e32 v67, 21, v2
	v_lshrrev_b32_e32 v135, 21, v1
	v_lshlrev_b32_e32 v0, 4, v0
	s_clause 0x3
	global_load_dwordx4 v[168:171], v0, s[8:9] offset:800
	global_load_dwordx4 v[172:175], v0, s[8:9] offset:816
	;; [unrolled: 1-line block ×4, first 2 shown]
	v_mul_lo_u16 v2, v67, 60
	global_load_dwordx4 v[196:199], v0, s[8:9] offset:864
	v_mul_lo_u16 v1, v135, 60
	v_sub_nc_u16 v95, v150, v2
	v_sub_nc_u16 v137, v154, v1
	v_mul_u32_u24_sdwa v0, v95, v91 dst_sel:DWORD dst_unused:UNUSED_PAD src0_sel:WORD_0 src1_sel:DWORD
	v_lshlrev_b32_e32 v0, 4, v0
	s_clause 0x4
	global_load_dwordx4 v[200:203], v0, s[8:9] offset:800
	global_load_dwordx4 v[204:207], v0, s[8:9] offset:816
	;; [unrolled: 1-line block ×5, first 2 shown]
	v_mul_u32_u24_sdwa v0, v137, v91 dst_sel:DWORD dst_unused:UNUSED_PAD src0_sel:WORD_0 src1_sel:DWORD
	v_lshlrev_b32_e32 v91, 4, v139
	v_cndmask_b32_e64 v139, 0, 0x1680, s0
	v_lshlrev_b32_e32 v16, 4, v0
	s_clause 0x4
	global_load_dwordx4 v[0:3], v16, s[8:9] offset:800
	global_load_dwordx4 v[4:7], v16, s[8:9] offset:816
	;; [unrolled: 1-line block ×5, first 2 shown]
	ds_read_b128 v[154:157], v79
	ds_read_b128 v[158:161], v75
	ds_read_b128 v[176:179], v125 offset:23040
	ds_read_b128 v[182:185], v125 offset:30720
	;; [unrolled: 1-line block ×8, first 2 shown]
	v_add3_u32 v91, 0, v139, v91
	ds_read_b128 v[240:243], v125
	s_waitcnt vmcnt(24) lgkmcnt(10)
	v_mul_f64 v[24:25], v[156:157], v[30:31]
	v_mul_f64 v[30:31], v[154:155], v[30:31]
	s_waitcnt vmcnt(23) lgkmcnt(9)
	v_mul_f64 v[65:66], v[160:161], v[51:52]
	v_mul_f64 v[51:52], v[158:159], v[51:52]
	;; [unrolled: 3-line block ×5, first 2 shown]
	v_fma_f64 v[108:109], v[154:155], v[28:29], -v[24:25]
	ds_read_b128 v[24:27], v125 offset:36864
	v_fma_f64 v[116:117], v[156:157], v[28:29], v[30:31]
	v_fma_f64 v[252:253], v[158:159], v[49:50], -v[65:66]
	v_fma_f64 v[254:255], v[160:161], v[49:50], v[51:52]
	ds_read_b128 v[49:52], v125 offset:39936
	ds_read_b128 v[28:31], v125 offset:13824
	v_fma_f64 v[104:105], v[176:177], v[32:33], -v[104:105]
	v_fma_f64 v[118:119], v[178:179], v[32:33], v[34:35]
	v_fma_f64 v[182:183], v[182:183], v[40:41], -v[110:111]
	v_fma_f64 v[180:181], v[184:185], v[40:41], v[42:43]
	s_waitcnt vmcnt(19) lgkmcnt(8)
	v_mul_f64 v[65:66], v[226:227], v[55:56]
	v_mul_f64 v[55:56], v[224:225], v[55:56]
	s_waitcnt vmcnt(18) lgkmcnt(7)
	v_mul_f64 v[154:155], v[230:231], v[59:60]
	v_mul_f64 v[59:60], v[228:229], v[59:60]
	;; [unrolled: 3-line block ×3, first 2 shown]
	v_fma_f64 v[186:187], v[220:221], v[36:37], -v[112:113]
	v_fma_f64 v[184:185], v[222:223], v[36:37], v[114:115]
	s_waitcnt vmcnt(16) lgkmcnt(4)
	v_mul_f64 v[36:37], v[238:239], v[164:165]
	v_mul_f64 v[42:43], v[236:237], v[164:165]
	ds_read_b128 v[244:247], v125 offset:26112
	ds_read_b128 v[32:35], v125 offset:10752
	;; [unrolled: 1-line block ×5, first 2 shown]
	s_waitcnt vmcnt(15) lgkmcnt(6)
	v_mul_f64 v[110:111], v[51:52], v[46:47]
	v_mul_f64 v[46:47], v[49:50], v[46:47]
	v_fma_f64 v[158:159], v[224:225], v[53:54], -v[65:66]
	v_fma_f64 v[156:157], v[226:227], v[53:54], v[55:56]
	v_fma_f64 v[65:66], v[228:229], v[57:58], -v[154:155]
	v_fma_f64 v[154:155], v[230:231], v[57:58], v[59:60]
	;; [unrolled: 2-line block ×3, first 2 shown]
	ds_read_b128 v[224:227], v125 offset:12288
	ds_read_b128 v[228:231], v125 offset:19968
	s_waitcnt vmcnt(12) lgkmcnt(6)
	v_mul_f64 v[112:113], v[246:247], v[190:191]
	s_waitcnt lgkmcnt(5)
	v_mul_f64 v[53:54], v[34:35], v[170:171]
	v_mul_f64 v[55:56], v[32:33], v[170:171]
	s_waitcnt lgkmcnt(4)
	v_mul_f64 v[57:58], v[40:41], v[174:175]
	v_mul_f64 v[59:60], v[38:39], v[174:175]
	;; [unrolled: 1-line block ×3, first 2 shown]
	s_waitcnt vmcnt(11) lgkmcnt(3)
	v_mul_f64 v[190:191], v[222:223], v[194:195]
	v_fma_f64 v[61:62], v[236:237], v[162:163], -v[36:37]
	v_fma_f64 v[63:64], v[238:239], v[162:163], v[42:43]
	v_add_f64 v[36:37], v[118:119], v[184:185]
	v_fma_f64 v[176:177], v[49:50], v[44:45], -v[110:111]
	v_add_f64 v[42:43], v[104:105], v[186:187]
	v_fma_f64 v[178:179], v[51:52], v[44:45], v[46:47]
	ds_read_b128 v[49:52], v125 offset:27648
	v_mul_f64 v[44:45], v[220:221], v[194:195]
	s_waitcnt vmcnt(10) lgkmcnt(3)
	v_mul_f64 v[46:47], v[250:251], v[198:199]
	v_mul_f64 v[110:111], v[248:249], v[198:199]
	v_add_f64 v[198:199], v[104:105], -v[186:187]
	ds_read_b128 v[232:235], v125 offset:35328
	v_add_f64 v[104:105], v[108:109], v[104:105]
	v_fma_f64 v[166:167], v[32:33], v[168:169], -v[53:54]
	v_fma_f64 v[170:171], v[34:35], v[168:169], v[55:56]
	ds_read_b128 v[32:35], v125 offset:43008
	v_fma_f64 v[162:163], v[38:39], v[172:173], -v[57:58]
	v_fma_f64 v[168:169], v[40:41], v[172:173], v[59:60]
	v_fma_f64 v[172:173], v[244:245], v[188:189], -v[112:113]
	v_fma_f64 v[174:175], v[246:247], v[188:189], v[114:115]
	v_fma_f64 v[53:54], v[220:221], v[192:193], -v[190:191]
	v_fma_f64 v[114:115], v[36:37], -0.5, v[116:117]
	v_add_f64 v[220:221], v[118:119], -v[184:185]
	s_waitcnt vmcnt(8) lgkmcnt(3)
	v_mul_f64 v[36:37], v[230:231], v[206:207]
	ds_read_b128 v[188:191], v125 offset:29184
	v_add_f64 v[116:117], v[116:117], v[118:119]
	v_fma_f64 v[55:56], v[222:223], v[192:193], v[44:45]
	ds_read_b128 v[192:195], v125 offset:44544
	v_mul_f64 v[38:39], v[226:227], v[202:203]
	v_mul_f64 v[112:113], v[224:225], v[202:203]
	v_fma_f64 v[202:203], v[42:43], -0.5, v[108:109]
	v_fma_f64 v[57:58], v[248:249], v[196:197], -v[46:47]
	v_fma_f64 v[59:60], v[250:251], v[196:197], v[110:111]
	v_mul_f64 v[46:47], v[228:229], v[206:207]
	s_waitcnt vmcnt(7) lgkmcnt(4)
	v_mul_f64 v[110:111], v[51:52], v[210:211]
	v_mul_f64 v[196:197], v[49:50], v[210:211]
	s_waitcnt vmcnt(6) lgkmcnt(3)
	v_mul_f64 v[206:207], v[234:235], v[214:215]
	;; [unrolled: 3-line block ×3, first 2 shown]
	v_add_f64 v[222:223], v[252:253], v[182:183]
	v_mul_f64 v[218:219], v[32:33], v[218:219]
	v_add_f64 v[108:109], v[242:243], v[254:255]
	v_add_f64 v[104:105], v[104:105], v[186:187]
	v_fma_f64 v[44:45], v[228:229], v[204:205], -v[36:37]
	v_add_f64 v[116:117], v[116:117], v[184:185]
	v_add_f64 v[184:185], v[164:165], -v[176:177]
	v_fma_f64 v[40:41], v[224:225], v[200:201], -v[38:39]
	v_fma_f64 v[42:43], v[226:227], v[200:201], v[112:113]
	v_fma_f64 v[200:201], v[198:199], s[6:7], v[114:115]
	;; [unrolled: 1-line block ×3, first 2 shown]
	s_waitcnt vmcnt(4)
	v_mul_f64 v[226:227], v[30:31], v[2:3]
	v_add_f64 v[112:113], v[254:255], v[180:181]
	v_fma_f64 v[46:47], v[230:231], v[204:205], v[46:47]
	v_fma_f64 v[49:50], v[49:50], v[208:209], -v[110:111]
	v_fma_f64 v[51:52], v[51:52], v[208:209], v[196:197]
	v_fma_f64 v[36:37], v[232:233], v[212:213], -v[206:207]
	v_fma_f64 v[32:33], v[32:33], v[216:217], -v[214:215]
	v_mul_f64 v[110:111], v[28:29], v[2:3]
	v_fma_f64 v[196:197], v[222:223], -0.5, v[240:241]
	v_add_f64 v[204:205], v[240:241], v[252:253]
	v_add_f64 v[208:209], v[254:255], -v[180:181]
	s_waitcnt vmcnt(3)
	v_mul_f64 v[214:215], v[22:23], v[6:7]
	v_fma_f64 v[202:203], v[220:221], s[6:7], v[202:203]
	v_fma_f64 v[114:115], v[198:199], s[4:5], v[114:115]
	;; [unrolled: 1-line block ×3, first 2 shown]
	v_add_f64 v[210:211], v[252:253], -v[182:183]
	v_add_f64 v[212:213], v[164:165], v[176:177]
	s_waitcnt vmcnt(2) lgkmcnt(1)
	v_mul_f64 v[198:199], v[190:191], v[10:11]
	v_mul_f64 v[10:11], v[188:189], v[10:11]
	v_fma_f64 v[34:35], v[34:35], v[216:217], v[218:219]
	v_mul_f64 v[118:119], v[200:201], s[4:5]
	v_mul_f64 v[206:207], v[224:225], s[6:7]
	v_fma_f64 v[2:3], v[28:29], v[0:1], -v[226:227]
	v_add_f64 v[28:29], v[160:161], v[178:179]
	v_fma_f64 v[112:113], v[112:113], -0.5, v[242:243]
	v_mul_f64 v[6:7], v[20:21], v[6:7]
	s_waitcnt vmcnt(1)
	v_mul_f64 v[216:217], v[26:27], v[14:15]
	v_mul_f64 v[14:15], v[24:25], v[14:15]
	s_waitcnt vmcnt(0) lgkmcnt(0)
	v_mul_f64 v[218:219], v[194:195], v[18:19]
	v_mul_f64 v[18:19], v[192:193], v[18:19]
	v_add_f64 v[108:109], v[108:109], v[180:181]
	v_add_f64 v[182:183], v[204:205], v[182:183]
	v_fma_f64 v[0:1], v[30:31], v[0:1], v[110:111]
	v_fma_f64 v[204:205], v[20:21], v[4:5], -v[214:215]
	v_mul_f64 v[20:21], v[202:203], -0.5
	v_add_f64 v[164:165], v[158:159], v[164:165]
	v_fma_f64 v[186:187], v[212:213], -0.5, v[158:159]
	v_fma_f64 v[188:189], v[188:189], v[8:9], -v[198:199]
	v_fma_f64 v[190:191], v[190:191], v[8:9], v[10:11]
	ds_read_b128 v[8:11], v85
	v_fma_f64 v[30:31], v[224:225], 0.5, v[118:119]
	v_fma_f64 v[110:111], v[200:201], 0.5, v[206:207]
	v_fma_f64 v[118:119], v[208:209], s[4:5], v[196:197]
	v_fma_f64 v[28:29], v[28:29], -0.5, v[156:157]
	v_mul_f64 v[206:207], v[114:115], -0.5
	v_fma_f64 v[180:181], v[210:211], s[6:7], v[112:113]
	v_add_f64 v[200:201], v[160:161], -v[178:179]
	v_fma_f64 v[212:213], v[22:23], v[4:5], v[6:7]
	v_fma_f64 v[198:199], v[24:25], v[12:13], -v[216:217]
	v_fma_f64 v[214:215], v[26:27], v[12:13], v[14:15]
	ds_read_b128 v[24:27], v87
	v_fma_f64 v[192:193], v[192:193], v[16:17], -v[218:219]
	v_fma_f64 v[194:195], v[194:195], v[16:17], v[18:19]
	v_add_f64 v[4:5], v[182:183], v[104:105]
	v_add_f64 v[216:217], v[65:66], v[61:62]
	;; [unrolled: 1-line block ×3, first 2 shown]
	v_add_f64 v[12:13], v[182:183], -v[104:105]
	v_add_f64 v[14:15], v[108:109], -v[116:117]
	v_add_f64 v[104:105], v[154:155], v[63:64]
	v_fma_f64 v[116:117], v[208:209], s[6:7], v[196:197]
	v_fma_f64 v[112:113], v[210:211], s[4:5], v[112:113]
	;; [unrolled: 1-line block ×3, first 2 shown]
	v_add_f64 v[210:211], v[154:155], -v[63:64]
	v_add_f64 v[16:17], v[118:119], v[30:31]
	v_fma_f64 v[108:109], v[184:185], s[6:7], v[28:29]
	v_fma_f64 v[196:197], v[202:203], s[6:7], v[206:207]
	v_add_f64 v[20:21], v[118:119], -v[30:31]
	v_add_f64 v[118:119], v[174:175], v[59:60]
	v_add_f64 v[18:19], v[180:181], v[110:111]
	v_fma_f64 v[182:183], v[200:201], s[4:5], v[186:187]
	v_add_f64 v[22:23], v[180:181], -v[110:111]
	v_add_f64 v[110:111], v[172:173], v[57:58]
	v_fma_f64 v[186:187], v[200:201], s[6:7], v[186:187]
	v_fma_f64 v[184:185], v[184:185], s[4:5], v[28:29]
	s_waitcnt lgkmcnt(1)
	v_add_f64 v[202:203], v[8:9], v[65:66]
	v_fma_f64 v[180:181], v[216:217], -0.5, v[8:9]
	v_add_f64 v[206:207], v[10:11], v[154:155]
	v_add_f64 v[200:201], v[156:157], v[160:161]
	v_add_f64 v[65:66], v[65:66], -v[61:62]
	v_fma_f64 v[104:105], v[104:105], -0.5, v[10:11]
	ds_read_b128 v[154:157], v83
	ds_read_b128 v[158:161], v81
	s_waitcnt lgkmcnt(0)
	v_add_f64 v[8:9], v[116:117], v[114:115]
	v_add_f64 v[28:29], v[116:117], -v[114:115]
	v_add_f64 v[114:115], v[172:173], -v[57:58]
	;; [unrolled: 1-line block ×3, first 2 shown]
	v_mul_f64 v[208:209], v[108:109], s[4:5]
	v_add_f64 v[10:11], v[112:113], v[196:197]
	v_add_f64 v[30:31], v[112:113], -v[196:197]
	v_fma_f64 v[112:113], v[118:119], -0.5, v[170:171]
	v_add_f64 v[118:119], v[164:165], v[176:177]
	v_mul_f64 v[216:217], v[182:183], s[6:7]
	s_barrier
	v_fma_f64 v[110:111], v[110:111], -0.5, v[166:167]
	v_mul_f64 v[164:165], v[186:187], -0.5
	v_mul_f64 v[176:177], v[184:185], -0.5
	v_add_f64 v[61:62], v[202:203], v[61:62]
	v_add_f64 v[202:203], v[162:163], v[53:54]
	;; [unrolled: 1-line block ×5, first 2 shown]
	v_fma_f64 v[196:197], v[210:211], s[4:5], v[180:181]
	v_fma_f64 v[200:201], v[65:66], s[6:7], v[104:105]
	buffer_gl0_inv
	ds_write_b128 v91, v[4:7]
	ds_write_b128 v91, v[16:19] offset:960
	ds_write_b128 v91, v[8:11] offset:1920
	v_fma_f64 v[182:183], v[182:183], 0.5, v[208:209]
	v_fma_f64 v[180:181], v[210:211], s[6:7], v[180:181]
	v_fma_f64 v[65:66], v[65:66], s[4:5], v[104:105]
	;; [unrolled: 1-line block ×4, first 2 shown]
	v_fma_f64 v[108:109], v[108:109], 0.5, v[216:217]
	v_add_f64 v[114:115], v[26:27], v[168:169]
	v_fma_f64 v[216:217], v[116:117], s[4:5], v[110:111]
	v_fma_f64 v[104:105], v[184:185], s[4:5], v[164:165]
	;; [unrolled: 1-line block ×3, first 2 shown]
	v_add_f64 v[4:5], v[61:62], v[118:119]
	v_add_f64 v[8:9], v[61:62], -v[118:119]
	v_fma_f64 v[61:62], v[116:117], s[6:7], v[110:111]
	v_add_f64 v[116:117], v[24:25], v[162:163]
	v_add_f64 v[118:119], v[166:167], v[172:173]
	;; [unrolled: 1-line block ×4, first 2 shown]
	v_add_f64 v[10:11], v[63:64], -v[178:179]
	v_fma_f64 v[63:64], v[202:203], -0.5, v[24:25]
	v_fma_f64 v[110:111], v[206:207], -0.5, v[26:27]
	v_add_f64 v[168:169], v[168:169], -v[55:56]
	v_add_f64 v[162:163], v[162:163], -v[53:54]
	v_mov_b32_e32 v24, 0x1680
	ds_write_b128 v91, v[12:15] offset:2880
	ds_write_b128 v91, v[20:23] offset:3840
	v_mul_f64 v[170:171], v[208:209], s[4:5]
	ds_write_b128 v91, v[28:31] offset:4800
	v_add_f64 v[14:15], v[200:201], v[108:109]
	v_add_f64 v[18:19], v[200:201], -v[108:109]
	v_mul_f64 v[172:173], v[216:217], s[6:7]
	v_add_f64 v[20:21], v[180:181], v[104:105]
	v_add_f64 v[22:23], v[65:66], v[164:165]
	v_mul_u32_u24_sdwa v99, v99, v24 dst_sel:DWORD dst_unused:UNUSED_PAD src0_sel:WORD_0 src1_sel:DWORD
	v_add_f64 v[24:25], v[180:181], -v[104:105]
	v_add_f64 v[26:27], v[65:66], -v[164:165]
	v_mul_f64 v[65:66], v[61:62], -0.5
	v_add_f64 v[104:105], v[51:52], v[34:35]
	v_add_f64 v[108:109], v[49:50], v[32:33]
	;; [unrolled: 1-line block ×3, first 2 shown]
	v_mul_f64 v[116:117], v[112:113], -0.5
	v_add_f64 v[55:56], v[114:115], v[55:56]
	v_add_f64 v[57:58], v[118:119], v[57:58]
	;; [unrolled: 1-line block ×5, first 2 shown]
	v_fma_f64 v[164:165], v[168:169], s[4:5], v[63:64]
	v_fma_f64 v[166:167], v[162:163], s[6:7], v[110:111]
	v_fma_f64 v[114:115], v[216:217], 0.5, v[170:171]
	v_add_f64 v[170:171], v[190:191], v[194:195]
	v_fma_f64 v[30:31], v[168:169], s[6:7], v[63:64]
	v_fma_f64 v[63:64], v[162:163], s[4:5], v[110:111]
	v_fma_f64 v[118:119], v[208:209], 0.5, v[172:173]
	v_add_f64 v[110:111], v[49:50], -v[32:33]
	v_add_f64 v[16:17], v[196:197], -v[182:183]
	v_add3_u32 v99, 0, v99, v101
	ds_write_b128 v99, v[4:7]
	ds_write_b128 v99, v[12:15] offset:960
	ds_write_b128 v99, v[20:23] offset:1920
	;; [unrolled: 1-line block ×3, first 2 shown]
	v_fma_f64 v[65:66], v[112:113], s[4:5], v[65:66]
	v_fma_f64 v[104:105], v[104:105], -0.5, v[42:43]
	v_fma_f64 v[108:109], v[108:109], -0.5, v[40:41]
	v_add_f64 v[112:113], v[51:52], -v[34:35]
	v_fma_f64 v[61:62], v[61:62], s[6:7], v[116:117]
	v_add_f64 v[4:5], v[53:54], v[57:58]
	v_add_f64 v[6:7], v[55:56], v[59:60]
	v_add_f64 v[8:9], v[53:54], -v[57:58]
	v_fma_f64 v[53:54], v[170:171], -0.5, v[0:1]
	v_add_f64 v[57:58], v[188:189], -v[192:193]
	v_fma_f64 v[28:29], v[28:29], -0.5, v[2:3]
	v_add_f64 v[116:117], v[190:191], -v[194:195]
	v_add_f64 v[12:13], v[164:165], v[114:115]
	v_add_f64 v[14:15], v[166:167], v[118:119]
	;; [unrolled: 1-line block ×4, first 2 shown]
	v_add_f64 v[10:11], v[55:56], -v[59:60]
	ds_write_b128 v99, v[16:19] offset:3840
	ds_write_b128 v99, v[24:27] offset:4800
	v_mul_u32_u24_e32 v24, 0x1680, v93
	v_lshlrev_b32_sdwa v25, v89, v97 dst_sel:DWORD dst_unused:UNUSED_PAD src0_sel:DWORD src1_sel:WORD_0
	v_add_f64 v[40:41], v[40:41], v[49:50]
	v_add_f64 v[42:43], v[42:43], v[51:52]
	;; [unrolled: 1-line block ×3, first 2 shown]
	v_fma_f64 v[55:56], v[110:111], s[6:7], v[104:105]
	v_fma_f64 v[104:105], v[110:111], s[4:5], v[104:105]
	v_fma_f64 v[59:60], v[112:113], s[4:5], v[108:109]
	v_fma_f64 v[108:109], v[112:113], s[6:7], v[108:109]
	v_add3_u32 v91, 0, v24, v25
	v_add_f64 v[110:111], v[204:205], v[198:199]
	v_add_f64 v[112:113], v[212:213], v[214:215]
	ds_write_b128 v91, v[4:7]
	ds_write_b128 v91, v[12:15] offset:960
	v_fma_f64 v[4:5], v[57:58], s[6:7], v[53:54]
	v_fma_f64 v[6:7], v[116:117], s[4:5], v[28:29]
	v_add_f64 v[22:23], v[63:64], v[61:62]
	v_add_f64 v[24:25], v[30:31], -v[65:66]
	v_add_f64 v[26:27], v[63:64], -v[61:62]
	v_add_f64 v[30:31], v[154:155], v[44:45]
	v_add_f64 v[61:62], v[156:157], v[46:47]
	v_fma_f64 v[28:29], v[116:117], s[6:7], v[28:29]
	v_fma_f64 v[53:54], v[57:58], s[4:5], v[53:54]
	v_fma_f64 v[12:13], v[162:163], -0.5, v[154:155]
	v_fma_f64 v[14:15], v[168:169], -0.5, v[156:157]
	v_mul_f64 v[49:50], v[55:56], s[4:5]
	v_mul_f64 v[51:52], v[59:60], s[6:7]
	v_add_f64 v[46:47], v[46:47], -v[38:39]
	v_add_f64 v[44:45], v[44:45], -v[36:37]
	v_mul_f64 v[57:58], v[108:109], -0.5
	v_mul_f64 v[63:64], v[104:105], -0.5
	v_add_f64 v[16:17], v[164:165], -v[114:115]
	v_add_f64 v[18:19], v[166:167], -v[118:119]
	v_fma_f64 v[65:66], v[110:111], -0.5, v[158:159]
	v_fma_f64 v[110:111], v[112:113], -0.5, v[160:161]
	v_add_f64 v[112:113], v[158:159], v[204:205]
	v_add_f64 v[114:115], v[160:161], v[212:213]
	;; [unrolled: 1-line block ×4, first 2 shown]
	v_mul_f64 v[116:117], v[4:5], s[4:5]
	v_mul_f64 v[118:119], v[6:7], s[6:7]
	v_add_f64 v[154:155], v[212:213], -v[214:215]
	v_add_f64 v[156:157], v[204:205], -v[198:199]
	v_add_f64 v[30:31], v[30:31], v[36:37]
	v_add_f64 v[36:37], v[61:62], v[38:39]
	v_mul_f64 v[38:39], v[28:29], -0.5
	v_mul_f64 v[61:62], v[53:54], -0.5
	v_add_f64 v[32:33], v[40:41], v[32:33]
	v_add_f64 v[34:35], v[42:43], v[34:35]
	v_fma_f64 v[40:41], v[59:60], 0.5, v[49:50]
	v_fma_f64 v[42:43], v[55:56], 0.5, v[51:52]
	v_fma_f64 v[49:50], v[46:47], s[4:5], v[12:13]
	v_fma_f64 v[51:52], v[44:45], s[6:7], v[14:15]
	;; [unrolled: 1-line block ×6, first 2 shown]
	v_add_f64 v[59:60], v[112:113], v[198:199]
	v_add_f64 v[63:64], v[114:115], v[214:215]
	;; [unrolled: 1-line block ×4, first 2 shown]
	v_fma_f64 v[112:113], v[6:7], 0.5, v[116:117]
	v_fma_f64 v[114:115], v[4:5], 0.5, v[118:119]
	v_fma_f64 v[116:117], v[154:155], s[4:5], v[65:66]
	v_fma_f64 v[118:119], v[156:157], s[6:7], v[110:111]
	;; [unrolled: 1-line block ×6, first 2 shown]
	v_add_f64 v[0:1], v[30:31], v[32:33]
	v_add_f64 v[2:3], v[36:37], v[34:35]
	v_add_f64 v[4:5], v[30:31], -v[32:33]
	v_add_f64 v[6:7], v[36:37], -v[34:35]
	v_add_f64 v[12:13], v[49:50], v[40:41]
	v_add_f64 v[14:15], v[51:52], v[42:43]
	ds_write_b128 v91, v[20:23] offset:1920
	v_add_f64 v[20:21], v[49:50], -v[40:41]
	v_add_f64 v[28:29], v[46:47], v[55:56]
	v_add_f64 v[30:31], v[44:45], v[57:58]
	v_add_f64 v[22:23], v[51:52], -v[42:43]
	v_add_f64 v[32:33], v[46:47], -v[55:56]
	v_mul_u32_u24_e32 v55, 0x1680, v67
	v_lshlrev_b32_sdwa v56, v89, v95 dst_sel:DWORD dst_unused:UNUSED_PAD src0_sel:DWORD src1_sel:WORD_0
	v_add_f64 v[34:35], v[44:45], -v[57:58]
	v_add_f64 v[36:37], v[59:60], v[104:105]
	v_add_f64 v[38:39], v[63:64], v[108:109]
	ds_write_b128 v91, v[8:11] offset:2880
	v_add_f64 v[8:9], v[116:117], -v[112:113]
	v_add_f64 v[10:11], v[118:119], -v[114:115]
	v_add_f64 v[44:45], v[116:117], v[112:113]
	v_add_f64 v[46:47], v[118:119], v[114:115]
	v_add3_u32 v55, 0, v55, v56
	v_add_f64 v[49:50], v[65:66], v[53:54]
	v_add_f64 v[51:52], v[110:111], v[61:62]
	v_add_f64 v[40:41], v[59:60], -v[104:105]
	v_add_f64 v[42:43], v[63:64], -v[108:109]
	ds_write_b128 v91, v[16:19] offset:3840
	ds_write_b128 v91, v[24:27] offset:4800
	ds_write_b128 v55, v[0:3]
	v_add_f64 v[0:1], v[65:66], -v[53:54]
	v_add_f64 v[2:3], v[110:111], -v[61:62]
	ds_write_b128 v55, v[12:15] offset:960
	ds_write_b128 v55, v[28:31] offset:1920
	v_lshlrev_b64 v[12:13], 4, v[70:71]
	v_mul_u32_u24_e32 v16, 0x1680, v135
	v_lshlrev_b32_sdwa v17, v89, v137 dst_sel:DWORD dst_unused:UNUSED_PAD src0_sel:DWORD src1_sel:WORD_0
	ds_write_b128 v55, v[4:7] offset:2880
	ds_write_b128 v55, v[20:23] offset:3840
	;; [unrolled: 1-line block ×3, first 2 shown]
	s_addc_u32 s4, s9, 0
	s_mov_b32 s5, exec_lo
	v_add_co_u32 v4, s0, s8, v12
	v_add3_u32 v14, 0, v16, v17
	v_add_co_ci_u32_e64 v5, s0, s9, v13, s0
	v_lshlrev_b64 v[16:17], 4, v[106:107]
	ds_write_b128 v14, v[36:39]
	ds_write_b128 v14, v[44:47] offset:960
	ds_write_b128 v14, v[49:52] offset:1920
	;; [unrolled: 1-line block ×4, first 2 shown]
	v_add_co_u32 v10, s0, 0x1000, v4
	v_add_co_ci_u32_e64 v11, s0, 0, v5, s0
	v_add_co_u32 v8, s0, s8, v16
	ds_write_b128 v14, v[0:3] offset:4800
	v_add_co_ci_u32_e64 v9, s0, s9, v17, s0
	v_lshlrev_b64 v[14:15], 4, v[152:153]
	v_add_co_u32 v0, s0, 0x1000, v8
	v_add_co_ci_u32_e64 v1, s0, 0, v9, s0
	v_add_nc_u32_e32 v2, 0xffffffb8, v70
	v_add_co_u32 v6, s0, s8, v14
	v_add_co_ci_u32_e64 v7, s0, s9, v15, s0
	v_cmp_gt_u32_e64 s0, 0x48, v70
	v_mov_b32_e32 v46, 0x2d83
	s_waitcnt lgkmcnt(0)
	s_barrier
	buffer_gl0_inv
	v_cndmask_b32_e64 v47, v2, v150, s0
	v_add_co_u32 v2, s0, 0x1000, v6
	v_add_co_ci_u32_e64 v3, s0, 0, v7, s0
	v_lshlrev_b64 v[18:19], 4, v[47:48]
	s_clause 0x3
	global_load_dwordx4 v[22:25], v[10:11], off offset:1504
	global_load_dwordx4 v[26:29], v[10:11], off offset:1888
	;; [unrolled: 1-line block ×4, first 2 shown]
	v_mul_u32_u24_sdwa v3, v124, v46 dst_sel:DWORD dst_unused:UNUSED_PAD src0_sel:WORD_0 src1_sel:DWORD
	v_add_nc_u32_e32 v10, 0xd8, v70
	v_mov_b32_e32 v11, v48
	v_mul_u32_u24_sdwa v20, v136, v46 dst_sel:DWORD dst_unused:UNUSED_PAD src0_sel:WORD_0 src1_sel:DWORD
	v_add_co_u32 v0, s0, s8, v18
	v_add_co_ci_u32_e64 v2, s0, s9, v19, s0
	v_lshlrev_b64 v[10:11], 4, v[10:11]
	v_add_co_u32 v1, s0, 0x1000, v0
	v_lshrrev_b32_e32 v0, 22, v3
	v_add_co_ci_u32_e64 v2, s0, 0, v2, s0
	v_add_co_u32 v18, s0, 0x1800, v4
	v_mul_lo_u16 v3, 0x168, v0
	v_add_co_ci_u32_e64 v19, s0, 0, v5, s0
	s_clause 0x1
	global_load_dwordx4 v[38:41], v[1:2], off offset:1504
	global_load_dwordx4 v[42:45], v[18:19], off offset:1376
	v_sub_nc_u16 v1, v124, v3
	v_lshrrev_b32_e32 v2, 22, v20
	v_add_co_u32 v3, s0, s8, v10
	v_add_co_ci_u32_e64 v10, s0, s9, v11, s0
	v_lshlrev_b32_sdwa v1, v89, v1 dst_sel:DWORD dst_unused:UNUSED_PAD src0_sel:DWORD src1_sel:WORD_0
	v_mul_lo_u16 v2, 0x168, v2
	v_add_co_u32 v18, s0, 0x1000, v3
	v_mul_u32_u24_sdwa v11, v134, v46 dst_sel:DWORD dst_unused:UNUSED_PAD src0_sel:WORD_0 src1_sel:DWORD
	v_add_co_ci_u32_e64 v19, s0, 0, v10, s0
	v_sub_nc_u16 v2, v136, v2
	v_add_co_u32 v10, s0, s8, v1
	v_lshrrev_b32_e32 v3, 22, v11
	v_add_co_ci_u32_e64 v11, null, s9, 0, s0
	v_lshlrev_b32_sdwa v2, v89, v2 dst_sel:DWORD dst_unused:UNUSED_PAD src0_sel:DWORD src1_sel:WORD_0
	v_add_co_u32 v20, s0, 0x1000, v10
	v_mul_u32_u24_sdwa v10, v148, v46 dst_sel:DWORD dst_unused:UNUSED_PAD src0_sel:WORD_0 src1_sel:DWORD
	v_mul_lo_u16 v3, 0x168, v3
	v_add_co_ci_u32_e64 v21, s0, 0, v11, s0
	v_add_co_u32 v11, s0, s8, v2
	v_lshrrev_b32_e32 v10, 22, v10
	v_sub_nc_u16 v3, v134, v3
	v_add_co_ci_u32_e64 v49, null, s9, 0, s0
	v_add_co_u32 v57, s0, 0x1000, v11
	v_mul_lo_u16 v10, 0x168, v10
	v_mul_u32_u24_sdwa v11, v144, v46 dst_sel:DWORD dst_unused:UNUSED_PAD src0_sel:WORD_0 src1_sel:DWORD
	v_lshlrev_b32_sdwa v3, v89, v3 dst_sel:DWORD dst_unused:UNUSED_PAD src0_sel:DWORD src1_sel:WORD_0
	v_add_co_ci_u32_e64 v58, s0, 0, v49, s0
	v_sub_nc_u16 v59, v148, v10
	v_lshrrev_b32_e32 v10, 22, v11
	v_add_co_u32 v49, s0, s8, v3
	v_add_co_ci_u32_e64 v50, null, s9, 0, s0
	v_mul_lo_u16 v65, 0x168, v10
	v_lshlrev_b32_sdwa v11, v89, v59 dst_sel:DWORD dst_unused:UNUSED_PAD src0_sel:DWORD src1_sel:WORD_0
	v_add_co_u32 v61, s0, 0x1000, v49
	v_add_co_ci_u32_e64 v62, s0, 0, v50, s0
	s_clause 0x1
	global_load_dwordx4 v[49:52], v[18:19], off offset:1504
	global_load_dwordx4 v[53:56], v[20:21], off offset:1504
	v_sub_nc_u16 v18, v144, v65
	v_mul_u32_u24_sdwa v19, v142, v46 dst_sel:DWORD dst_unused:UNUSED_PAD src0_sel:WORD_0 src1_sel:DWORD
	v_add_co_u32 v20, s0, s8, v11
	v_add_co_ci_u32_e64 v21, null, s9, 0, s0
	v_lshlrev_b32_sdwa v18, v89, v18 dst_sel:DWORD dst_unused:UNUSED_PAD src0_sel:DWORD src1_sel:WORD_0
	v_lshrrev_b32_e32 v19, 22, v19
	v_add_co_u32 v20, s0, 0x1000, v20
	v_mul_u32_u24_sdwa v65, v140, v46 dst_sel:DWORD dst_unused:UNUSED_PAD src0_sel:WORD_0 src1_sel:DWORD
	v_add_co_ci_u32_e64 v21, s0, 0, v21, s0
	v_mul_lo_u16 v19, 0x168, v19
	v_add_co_u32 v66, s0, s8, v18
	v_mul_u32_u24_sdwa v46, v138, v46 dst_sel:DWORD dst_unused:UNUSED_PAD src0_sel:WORD_0 src1_sel:DWORD
	v_add_co_ci_u32_e64 v67, null, s9, 0, s0
	v_lshrrev_b32_e32 v71, 22, v65
	v_sub_nc_u16 v19, v142, v19
	v_add_co_u32 v65, s0, 0x1000, v66
	v_lshrrev_b32_e32 v46, 22, v46
	v_add_co_ci_u32_e64 v66, s0, 0, v67, s0
	v_mul_lo_u16 v67, 0x168, v71
	v_lshlrev_b32_sdwa v19, v89, v19 dst_sel:DWORD dst_unused:UNUSED_PAD src0_sel:DWORD src1_sel:WORD_0
	s_clause 0x3
	global_load_dwordx4 v[57:60], v[57:58], off offset:1504
	global_load_dwordx4 v[61:64], v[61:62], off offset:1504
	;; [unrolled: 1-line block ×4, first 2 shown]
	v_mul_lo_u16 v21, 0x168, v46
	v_sub_nc_u16 v20, v140, v67
	v_add_co_u32 v46, s0, s8, v19
	v_add_co_ci_u32_e64 v66, null, s9, 0, s0
	v_sub_nc_u16 v21, v138, v21
	v_lshlrev_b32_sdwa v20, v89, v20 dst_sel:DWORD dst_unused:UNUSED_PAD src0_sel:DWORD src1_sel:WORD_0
	v_add_co_u32 v65, s0, 0x1000, v46
	v_add_co_ci_u32_e64 v66, s0, 0, v66, s0
	v_lshlrev_b32_sdwa v21, v89, v21 dst_sel:DWORD dst_unused:UNUSED_PAD src0_sel:DWORD src1_sel:WORD_0
	v_add_co_u32 v46, s0, s8, v20
	v_add_co_ci_u32_e64 v67, null, s9, 0, s0
	v_add_co_u32 v71, s0, s8, v21
	v_add_co_ci_u32_e64 v89, null, s9, 0, s0
	v_add_co_u32 v104, s0, 0x1000, v46
	v_add_co_ci_u32_e64 v105, s0, 0, v67, s0
	v_add_co_u32 v107, s0, 0x1000, v71
	v_add_co_ci_u32_e64 v108, s0, 0, v89, s0
	s_clause 0x2
	global_load_dwordx4 v[155:158], v[65:66], off offset:1504
	global_load_dwordx4 v[159:162], v[104:105], off offset:1504
	;; [unrolled: 1-line block ×3, first 2 shown]
	ds_read_b128 v[167:170], v125 offset:23040
	ds_read_b128 v[171:174], v125 offset:24576
	;; [unrolled: 1-line block ×5, first 2 shown]
	ds_read_b128 v[187:190], v125
	ds_read_b128 v[191:194], v125 offset:30720
	ds_read_b128 v[195:198], v125 offset:32256
	ds_read_b128 v[203:206], v125 offset:35328
	ds_read_b128 v[199:202], v125 offset:33792
	v_lshl_add_u32 v46, v134, 4, 0
	v_cmp_lt_u32_e64 s0, 0x47, v70
	v_lshlrev_b32_e32 v47, 4, v47
	v_mul_u32_u24_e32 v0, 0x2d00, v0
	v_cndmask_b32_e64 v71, 0, 0x2d00, s0
	v_add3_u32 v0, 0, v0, v1
	v_add_nc_u32_e32 v1, 0, v2
	v_mul_u32_u24_e32 v2, 0x2d00, v10
	v_add3_u32 v47, 0, v71, v47
	v_add_co_u32 v10, s0, 0x2800, v4
	s_waitcnt vmcnt(14) lgkmcnt(9)
	v_mul_f64 v[65:66], v[169:170], v[24:25]
	v_mul_f64 v[24:25], v[167:168], v[24:25]
	s_waitcnt vmcnt(12) lgkmcnt(8)
	v_mul_f64 v[104:105], v[173:174], v[32:33]
	v_mul_f64 v[32:33], v[171:172], v[32:33]
	;; [unrolled: 3-line block ×3, first 2 shown]
	s_waitcnt lgkmcnt(5)
	v_mul_f64 v[111:112], v[185:186], v[28:29]
	v_mul_f64 v[113:114], v[183:184], v[28:29]
	v_fma_f64 v[117:118], v[167:168], v[22:23], -v[65:66]
	v_fma_f64 v[207:208], v[169:170], v[22:23], v[24:25]
	s_waitcnt vmcnt(10)
	v_mul_f64 v[109:110], v[181:182], v[40:41]
	v_mul_f64 v[40:41], v[179:180], v[40:41]
	s_waitcnt vmcnt(9) lgkmcnt(3)
	v_mul_f64 v[115:116], v[193:194], v[44:45]
	v_mul_f64 v[44:45], v[191:192], v[44:45]
	ds_read_b128 v[22:25], v125 offset:36864
	v_fma_f64 v[104:105], v[171:172], v[30:31], -v[104:105]
	v_fma_f64 v[209:210], v[173:174], v[30:31], v[32:33]
	v_fma_f64 v[107:108], v[175:176], v[34:35], -v[107:108]
	v_fma_f64 v[211:212], v[177:178], v[34:35], v[36:37]
	ds_read_b128 v[28:31], v125 offset:38400
	ds_read_b128 v[32:35], v125 offset:39936
	;; [unrolled: 1-line block ×3, first 2 shown]
	v_fma_f64 v[111:112], v[183:184], v[26:27], -v[111:112]
	v_fma_f64 v[113:114], v[185:186], v[26:27], v[113:114]
	ds_read_b128 v[171:174], v85
	ds_read_b128 v[175:178], v83
	v_fma_f64 v[109:110], v[179:180], v[38:39], -v[109:110]
	v_fma_f64 v[213:214], v[181:182], v[38:39], v[40:41]
	v_fma_f64 v[115:116], v[191:192], v[42:43], -v[115:116]
	v_fma_f64 v[215:216], v[193:194], v[42:43], v[44:45]
	ds_read_b128 v[40:43], v125 offset:44544
	ds_read_b128 v[36:39], v125 offset:41472
	ds_read_b128 v[191:194], v81
	s_waitcnt vmcnt(8) lgkmcnt(11)
	v_mul_f64 v[65:66], v[197:198], v[51:52]
	v_mul_f64 v[51:52], v[195:196], v[51:52]
	v_fma_f64 v[217:218], v[195:196], v[49:50], -v[65:66]
	v_fma_f64 v[219:220], v[197:198], v[49:50], v[51:52]
	v_lshl_add_u32 v51, v146, 4, 0
	s_waitcnt lgkmcnt(3)
	v_add_f64 v[195:196], v[175:176], -v[109:110]
	v_add_f64 v[197:198], v[177:178], -v[213:214]
	s_waitcnt vmcnt(6)
	v_mul_f64 v[181:182], v[205:206], v[59:60]
	v_mul_f64 v[26:27], v[203:204], v[59:60]
	s_waitcnt vmcnt(5)
	v_mul_f64 v[44:45], v[24:25], v[63:64]
	v_mul_f64 v[59:60], v[22:23], v[63:64]
	ds_read_b128 v[63:66], v87
	v_mul_f64 v[179:180], v[201:202], v[55:56]
	v_mul_f64 v[55:56], v[199:200], v[55:56]
	s_waitcnt vmcnt(3)
	v_mul_f64 v[221:222], v[34:35], v[153:154]
	v_mul_f64 v[49:50], v[30:31], v[149:150]
	;; [unrolled: 1-line block ×4, first 2 shown]
	v_fma_f64 v[203:204], v[203:204], v[57:58], -v[181:182]
	v_add_f64 v[181:182], v[173:174], -v[209:210]
	s_waitcnt lgkmcnt(0)
	v_add_f64 v[183:184], v[63:64], -v[107:108]
	v_add_f64 v[185:186], v[65:66], -v[211:212]
	v_fma_f64 v[109:110], v[24:25], v[61:62], v[59:60]
	v_fma_f64 v[199:200], v[199:200], v[53:54], -v[179:180]
	v_fma_f64 v[201:202], v[201:202], v[53:54], v[55:56]
	v_add_f64 v[52:53], v[187:188], -v[117:118]
	v_add_f64 v[54:55], v[189:190], -v[207:208]
	s_waitcnt vmcnt(2)
	v_mul_f64 v[223:224], v[38:39], v[157:158]
	v_mul_f64 v[157:158], v[36:37], v[157:158]
	s_waitcnt vmcnt(1)
	v_mul_f64 v[225:226], v[169:170], v[161:162]
	s_waitcnt vmcnt(0)
	v_mul_f64 v[227:228], v[42:43], v[165:166]
	v_add_f64 v[179:180], v[171:172], -v[104:105]
	v_mul_f64 v[161:162], v[167:168], v[161:162]
	v_mul_f64 v[165:166], v[40:41], v[165:166]
	v_fma_f64 v[104:105], v[205:206], v[57:58], v[26:27]
	v_fma_f64 v[207:208], v[32:33], v[151:152], -v[221:222]
	ds_read_b128 v[56:59], v51
	v_fma_f64 v[205:206], v[30:31], v[147:148], v[149:150]
	v_fma_f64 v[117:118], v[28:29], v[147:148], -v[49:50]
	v_lshl_add_u32 v50, v124, 4, 0
	v_fma_f64 v[107:108], v[22:23], v[61:62], -v[44:45]
	v_fma_f64 v[28:29], v[173:174], 2.0, -v[181:182]
	v_fma_f64 v[30:31], v[63:64], 2.0, -v[183:184]
	;; [unrolled: 1-line block ×3, first 2 shown]
	ds_read_b128 v[60:63], v50
	v_lshl_add_u32 v49, v136, 4, 0
	v_fma_f64 v[209:210], v[34:35], v[151:152], v[153:154]
	v_fma_f64 v[22:23], v[187:188], 2.0, -v[52:53]
	v_fma_f64 v[24:25], v[189:190], 2.0, -v[54:55]
	v_fma_f64 v[211:212], v[36:37], v[155:156], -v[223:224]
	v_fma_f64 v[213:214], v[38:39], v[155:156], v[157:158]
	v_fma_f64 v[221:222], v[167:168], v[159:160], -v[225:226]
	v_fma_f64 v[225:226], v[40:41], v[163:164], -v[227:228]
	ds_read_b128 v[38:41], v79
	v_add_f64 v[64:65], v[191:192], -v[111:112]
	v_add_f64 v[66:67], v[193:194], -v[113:114]
	v_fma_f64 v[26:27], v[171:172], 2.0, -v[179:180]
	v_fma_f64 v[223:224], v[169:170], v[159:160], v[161:162]
	v_fma_f64 v[227:228], v[42:43], v[163:164], v[165:166]
	s_waitcnt lgkmcnt(2)
	v_add_f64 v[166:167], v[56:57], -v[217:218]
	v_add_f64 v[168:169], v[58:59], -v[219:220]
	v_fma_f64 v[34:35], v[175:176], 2.0, -v[195:196]
	v_fma_f64 v[36:37], v[177:178], 2.0, -v[197:198]
	v_lshl_add_u32 v45, v144, 4, 0
	v_lshl_add_u32 v44, v142, 4, 0
	;; [unrolled: 1-line block ×4, first 2 shown]
	ds_read_b128 v[134:137], v49
	ds_read_b128 v[138:141], v46
	;; [unrolled: 1-line block ×7, first 2 shown]
	s_waitcnt lgkmcnt(0)
	s_barrier
	buffer_gl0_inv
	ds_write_b128 v125, v[52:55] offset:5760
	ds_write_b128 v125, v[22:25]
	v_add_f64 v[162:163], v[38:39], -v[115:116]
	v_add_f64 v[164:165], v[40:41], -v[215:216]
	;; [unrolled: 1-line block ×3, first 2 shown]
	v_fma_f64 v[52:53], v[191:192], 2.0, -v[64:65]
	v_fma_f64 v[54:55], v[193:194], 2.0, -v[66:67]
	v_add_f64 v[24:25], v[62:63], -v[201:202]
	ds_write_b128 v85, v[26:29]
	ds_write_b128 v85, v[179:182] offset:5760
	ds_write_b128 v87, v[30:33]
	ds_write_b128 v87, v[183:186] offset:5760
	ds_write_b128 v47, v[34:37]
	v_add_f64 v[34:35], v[134:135], -v[203:204]
	v_add_f64 v[36:37], v[136:137], -v[104:105]
	v_fma_f64 v[30:31], v[56:57], 2.0, -v[166:167]
	v_fma_f64 v[32:33], v[58:59], 2.0, -v[168:169]
	v_add_f64 v[170:171], v[146:147], -v[207:208]
	v_add_f64 v[172:173], v[148:149], -v[209:210]
	;; [unrolled: 1-line block ×4, first 2 shown]
	ds_write_b128 v47, v[195:198] offset:5760
	v_add_f64 v[174:175], v[154:155], -v[221:222]
	v_add_f64 v[176:177], v[156:157], -v[223:224]
	;; [unrolled: 1-line block ×4, first 2 shown]
	v_add_nc_u32_e32 v111, 0x150, v70
	v_fma_f64 v[26:27], v[38:39], 2.0, -v[162:163]
	v_fma_f64 v[28:29], v[40:41], 2.0, -v[164:165]
	v_add_f64 v[38:39], v[138:139], -v[107:108]
	v_add_f64 v[40:41], v[140:141], -v[109:110]
	ds_write_b128 v125, v[52:55] offset:11904
	v_add_f64 v[52:53], v[150:151], -v[211:212]
	v_add_f64 v[54:55], v[152:153], -v[213:214]
	v_fma_f64 v[60:61], v[60:61], 2.0, -v[22:23]
	v_fma_f64 v[62:63], v[62:63], 2.0, -v[24:25]
	ds_write_b128 v125, v[64:67] offset:17664
	ds_write_b128 v125, v[26:29] offset:13440
	;; [unrolled: 1-line block ×3, first 2 shown]
	v_fma_f64 v[26:27], v[134:135], 2.0, -v[34:35]
	v_fma_f64 v[28:29], v[136:137], 2.0, -v[36:37]
	ds_write_b128 v125, v[30:33] offset:14976
	v_fma_f64 v[30:31], v[138:139], 2.0, -v[38:39]
	v_fma_f64 v[32:33], v[140:141], 2.0, -v[40:41]
	;; [unrolled: 1-line block ×12, first 2 shown]
	ds_write_b128 v125, v[166:169] offset:20736
	ds_write_b128 v0, v[60:63]
	ds_write_b128 v0, v[22:25] offset:5760
	v_add_nc_u32_e32 v0, 0, v3
	v_add_nc_u32_e32 v3, 0, v11
	v_add_co_ci_u32_e64 v11, s0, 0, v5, s0
	v_lshlrev_b64 v[24:25], 4, v[132:133]
	v_lshlrev_b64 v[22:23], 4, v[130:131]
	ds_write_b128 v1, v[26:29] offset:23040
	ds_write_b128 v1, v[34:37] offset:28800
	;; [unrolled: 1-line block ×3, first 2 shown]
	v_add3_u32 v1, 0, v2, v18
	ds_write_b128 v0, v[38:41] offset:28800
	ds_write_b128 v3, v[64:67] offset:23040
	;; [unrolled: 1-line block ×3, first 2 shown]
	v_add_nc_u32_e32 v0, 0, v19
	ds_write_b128 v1, v[134:137]
	ds_write_b128 v1, v[170:173] offset:5760
	v_add_nc_u32_e32 v1, 0, v21
	v_add_nc_u32_e32 v2, 0, v20
	ds_write_b128 v0, v[138:141] offset:34560
	ds_write_b128 v0, v[52:55] offset:40320
	ds_write_b128 v2, v[142:145] offset:34560
	ds_write_b128 v2, v[174:177] offset:40320
	ds_write_b128 v1, v[146:149] offset:34560
	ds_write_b128 v1, v[178:181] offset:40320
	s_waitcnt lgkmcnt(0)
	s_barrier
	buffer_gl0_inv
	s_clause 0x1
	global_load_dwordx4 v[0:3], v[10:11], off offset:1120
	global_load_dwordx4 v[32:35], v[10:11], off offset:1888
	v_add_co_u32 v10, s0, 0x2800, v8
	v_add_co_ci_u32_e64 v11, s0, 0, v9, s0
	v_add_co_u32 v18, s0, 0x2800, v6
	v_add_co_ci_u32_e64 v19, s0, 0, v7, s0
	;; [unrolled: 2-line block ×4, first 2 shown]
	v_add_co_u32 v26, s0, 0x2800, v30
	v_lshlrev_b64 v[20:21], 4, v[128:129]
	v_add_co_ci_u32_e64 v27, s0, 0, v31, s0
	v_add_co_u32 v40, s0, 0x2800, v28
	v_add_co_ci_u32_e64 v41, s0, 0, v29, s0
	s_clause 0x3
	global_load_dwordx4 v[36:39], v[10:11], off offset:1120
	global_load_dwordx4 v[52:55], v[18:19], off offset:1120
	;; [unrolled: 1-line block ×4, first 2 shown]
	v_add_co_u32 v10, s0, s8, v20
	v_add_co_ci_u32_e64 v11, s0, s9, v21, s0
	v_subrev_nc_u32_e32 v26, 48, v70
	v_add_co_u32 v40, s0, 0x2800, v10
	v_add_co_ci_u32_e64 v41, s0, 0, v11, s0
	v_cmp_gt_u32_e64 s0, 48, v70
	v_lshlrev_b64 v[18:19], 4, v[126:127]
	v_add_nc_u32_e32 v64, 0x90, v70
	v_mov_b32_e32 v65, v48
	v_mov_b32_e32 v112, v48
	v_cndmask_b32_e64 v47, v26, v124, s0
	v_add_co_u32 v26, s0, s8, v18
	v_add_co_ci_u32_e64 v27, s0, s9, v19, s0
	v_lshlrev_b64 v[66:67], 4, v[47:48]
	v_add_co_u32 v104, s0, 0x2800, v26
	v_lshlrev_b64 v[64:65], 4, v[64:65]
	v_add_co_ci_u32_e64 v105, s0, 0, v27, s0
	v_add_co_u32 v66, s0, s8, v66
	v_add_co_ci_u32_e64 v67, s0, s9, v67, s0
	v_add_co_u32 v71, s0, s8, v64
	v_add_co_ci_u32_e64 v89, s0, s9, v65, s0
	v_add_nc_u32_e32 v64, 0xf0, v70
	v_mov_b32_e32 v65, v48
	v_add_co_u32 v107, s0, 0x2800, v66
	v_add_co_ci_u32_e64 v108, s0, 0, v67, s0
	v_add_co_u32 v109, s0, 0x2800, v71
	v_lshlrev_b64 v[113:114], 4, v[64:65]
	v_add_co_ci_u32_e64 v110, s0, 0, v89, s0
	s_clause 0x3
	global_load_dwordx4 v[64:67], v[40:41], off offset:1120
	global_load_dwordx4 v[126:129], v[104:105], off offset:1120
	;; [unrolled: 1-line block ×4, first 2 shown]
	v_lshlrev_b64 v[40:41], 4, v[111:112]
	v_add_co_u32 v71, s0, s8, v113
	v_add_co_ci_u32_e64 v89, s0, s9, v114, s0
	v_add_co_u32 v91, s0, s8, v40
	v_add_co_ci_u32_e64 v93, s0, s9, v41, s0
	v_add_nc_u32_e32 v40, 0x1b0, v70
	v_mov_b32_e32 v41, v48
	v_add_co_u32 v104, s0, 0x2800, v71
	v_add_co_ci_u32_e64 v105, s0, 0, v89, s0
	v_lshlrev_b64 v[40:41], 4, v[40:41]
	v_add_co_u32 v107, s0, 0x2800, v91
	v_add_co_ci_u32_e64 v108, s0, 0, v93, s0
	global_load_dwordx4 v[138:141], v[104:105], off offset:1120
	v_add_co_u32 v71, s0, s8, v40
	global_load_dwordx4 v[142:145], v[107:108], off offset:1120
	v_add_co_ci_u32_e64 v89, s0, s9, v41, s0
	v_add_nc_u32_e32 v40, 0x210, v70
	v_mov_b32_e32 v41, v48
	v_add_co_u32 v104, s0, 0x2800, v71
	v_add_co_ci_u32_e64 v105, s0, 0, v89, s0
	v_lshlrev_b64 v[40:41], 4, v[40:41]
	global_load_dwordx4 v[146:149], v[104:105], off offset:1120
	v_add_nc_u32_e32 v104, 0x270, v70
	v_mov_b32_e32 v105, v48
	v_add_co_u32 v48, s0, s8, v40
	v_add_co_ci_u32_e64 v71, s0, s9, v41, s0
	v_lshlrev_b64 v[40:41], 4, v[104:105]
	v_add_co_u32 v104, s0, 0x2800, v48
	v_add_co_ci_u32_e64 v105, s0, 0, v71, s0
	v_add_co_u32 v40, s0, s8, v40
	v_add_co_ci_u32_e64 v41, s0, s9, v41, s0
	global_load_dwordx4 v[150:153], v[104:105], off offset:1120
	v_add_co_u32 v40, s0, 0x2800, v40
	v_add_co_ci_u32_e64 v41, s0, 0, v41, s0
	v_cmp_lt_u32_e64 s0, 47, v70
	global_load_dwordx4 v[154:157], v[40:41], off offset:1120
	ds_read_b128 v[158:161], v125 offset:23040
	ds_read_b128 v[162:165], v125 offset:24576
	;; [unrolled: 1-line block ×3, first 2 shown]
	ds_read_b128 v[170:173], v125
	ds_read_b128 v[174:177], v125 offset:27648
	ds_read_b128 v[178:181], v125 offset:29184
	;; [unrolled: 1-line block ×6, first 2 shown]
	s_waitcnt vmcnt(14) lgkmcnt(9)
	v_mul_f64 v[104:105], v[160:161], v[2:3]
	v_mul_f64 v[2:3], v[158:159], v[2:3]
	v_fma_f64 v[104:105], v[158:159], v[0:1], -v[104:105]
	v_fma_f64 v[117:118], v[160:161], v[0:1], v[2:3]
	ds_read_b128 v[0:3], v125 offset:38400
	s_waitcnt vmcnt(12) lgkmcnt(9)
	v_mul_f64 v[107:108], v[164:165], v[38:39]
	v_mul_f64 v[109:110], v[162:163], v[38:39]
	ds_read_b128 v[38:41], v125 offset:32256
	s_waitcnt vmcnt(11) lgkmcnt(9)
	v_mul_f64 v[111:112], v[168:169], v[54:55]
	v_mul_f64 v[54:55], v[166:167], v[54:55]
	s_waitcnt vmcnt(9) lgkmcnt(6)
	v_mul_f64 v[115:116], v[180:181], v[62:63]
	v_mul_f64 v[62:63], v[178:179], v[62:63]
	;; [unrolled: 1-line block ×4, first 2 shown]
	ds_read_b128 v[158:161], v125 offset:39936
	v_fma_f64 v[107:108], v[162:163], v[36:37], -v[107:108]
	v_fma_f64 v[109:110], v[164:165], v[36:37], v[109:110]
	ds_read_b128 v[162:165], v125 offset:41472
	v_fma_f64 v[111:112], v[166:167], v[52:53], -v[111:112]
	v_fma_f64 v[166:167], v[168:169], v[52:53], v[54:55]
	s_waitcnt lgkmcnt(5)
	v_mul_f64 v[52:53], v[192:193], v[34:35]
	v_mul_f64 v[54:55], v[190:191], v[34:35]
	v_fma_f64 v[115:116], v[178:179], v[60:61], -v[115:116]
	v_fma_f64 v[178:179], v[180:181], v[60:61], v[62:63]
	v_fma_f64 v[113:114], v[174:175], v[56:57], -v[113:114]
	v_fma_f64 v[174:175], v[176:177], v[56:57], v[58:59]
	ds_read_b128 v[34:37], v125 offset:43008
	ds_read_b128 v[56:59], v87
	ds_read_b128 v[60:63], v83
	s_waitcnt vmcnt(8)
	v_mul_f64 v[198:199], v[184:185], v[66:67]
	s_waitcnt vmcnt(7) lgkmcnt(5)
	v_mul_f64 v[200:201], v[40:41], v[128:129]
	v_mul_f64 v[128:129], v[38:39], v[128:129]
	s_waitcnt vmcnt(6)
	v_mul_f64 v[202:203], v[188:189], v[132:133]
	s_waitcnt vmcnt(5)
	v_mul_f64 v[168:169], v[196:197], v[136:137]
	v_mul_f64 v[136:137], v[194:195], v[136:137]
	;; [unrolled: 1-line block ×3, first 2 shown]
	v_fma_f64 v[206:207], v[192:193], v[32:33], v[54:55]
	v_mul_f64 v[66:67], v[182:183], v[66:67]
	v_fma_f64 v[182:183], v[182:183], v[64:65], -v[198:199]
	v_fma_f64 v[200:201], v[38:39], v[126:127], -v[200:201]
	v_fma_f64 v[204:205], v[40:41], v[126:127], v[128:129]
	s_waitcnt vmcnt(4)
	v_mul_f64 v[176:177], v[2:3], v[140:141]
	v_mul_f64 v[140:141], v[0:1], v[140:141]
	ds_read_b128 v[38:41], v125 offset:44544
	s_waitcnt vmcnt(3) lgkmcnt(5)
	v_mul_f64 v[180:181], v[160:161], v[144:145]
	v_fma_f64 v[186:187], v[186:187], v[130:131], -v[202:203]
	v_fma_f64 v[202:203], v[190:191], v[32:33], -v[52:53]
	ds_read_b128 v[52:55], v85
	v_mul_f64 v[144:145], v[158:159], v[144:145]
	v_fma_f64 v[194:195], v[194:195], v[134:135], -v[168:169]
	v_fma_f64 v[196:197], v[196:197], v[134:135], v[136:137]
	v_add_f64 v[134:135], v[170:171], -v[104:105]
	v_add_f64 v[136:137], v[172:173], -v[117:118]
	v_fma_f64 v[184:185], v[184:185], v[64:65], v[66:67]
	v_fma_f64 v[188:189], v[188:189], v[130:131], v[132:133]
	ds_read_b128 v[64:67], v79
	s_waitcnt vmcnt(2) lgkmcnt(6)
	v_mul_f64 v[198:199], v[164:165], v[148:149]
	v_mul_f64 v[148:149], v[162:163], v[148:149]
	ds_read_b128 v[126:129], v51
	ds_read_b128 v[130:133], v50
	v_fma_f64 v[208:209], v[0:1], v[138:139], -v[176:177]
	v_fma_f64 v[210:211], v[2:3], v[138:139], v[140:141]
	ds_read_b128 v[0:3], v81
	v_fma_f64 v[212:213], v[158:159], v[142:143], -v[180:181]
	s_waitcnt lgkmcnt(4)
	v_add_f64 v[138:139], v[52:53], -v[107:108]
	v_add_f64 v[140:141], v[54:55], -v[109:110]
	;; [unrolled: 1-line block ×3, first 2 shown]
	v_fma_f64 v[214:215], v[160:161], v[142:143], v[144:145]
	v_add_f64 v[142:143], v[56:57], -v[111:112]
	v_add_f64 v[144:145], v[58:59], -v[166:167]
	s_waitcnt vmcnt(1)
	v_mul_f64 v[168:169], v[36:37], v[152:153]
	v_mul_f64 v[152:153], v[34:35], v[152:153]
	v_fma_f64 v[198:199], v[162:163], v[146:147], -v[198:199]
	ds_read_b128 v[160:163], v75
	v_fma_f64 v[104:105], v[164:165], v[146:147], v[148:149]
	s_waitcnt vmcnt(0)
	v_mul_f64 v[180:181], v[40:41], v[156:157]
	v_mul_f64 v[190:191], v[38:39], v[156:157]
	v_add_f64 v[156:157], v[60:61], -v[113:114]
	s_waitcnt lgkmcnt(4)
	v_add_f64 v[164:165], v[64:65], -v[182:183]
	s_waitcnt lgkmcnt(1)
	v_add_f64 v[148:149], v[2:3], -v[178:179]
	v_add_f64 v[166:167], v[66:67], -v[184:185]
	ds_read_b128 v[182:185], v44
	v_add_f64 v[174:175], v[130:131], -v[186:187]
	v_fma_f64 v[52:53], v[52:53], 2.0, -v[138:139]
	v_fma_f64 v[54:55], v[54:55], 2.0, -v[140:141]
	v_add_f64 v[176:177], v[132:133], -v[188:189]
	ds_read_b128 v[186:189], v43
	v_add_f64 v[146:147], v[0:1], -v[115:116]
	v_add_f64 v[32:33], v[126:127], -v[200:201]
	v_fma_f64 v[107:108], v[34:35], v[150:151], -v[168:169]
	v_fma_f64 v[109:110], v[36:37], v[150:151], v[152:153]
	v_fma_f64 v[36:37], v[170:171], 2.0, -v[134:135]
	ds_read_b128 v[150:153], v49
	ds_read_b128 v[168:171], v46
	v_add_f64 v[34:35], v[128:129], -v[204:205]
	v_fma_f64 v[56:57], v[56:57], 2.0, -v[142:143]
	v_fma_f64 v[58:59], v[58:59], 2.0, -v[144:145]
	v_fma_f64 v[111:112], v[38:39], v[154:155], -v[180:181]
	v_fma_f64 v[38:39], v[172:173], 2.0, -v[136:137]
	ds_read_b128 v[178:181], v45
	v_fma_f64 v[40:41], v[40:41], v[154:155], v[190:191]
	ds_read_b128 v[190:193], v42
	s_waitcnt lgkmcnt(0)
	s_barrier
	buffer_gl0_inv
	ds_write_b128 v125, v[36:39]
	ds_write_b128 v125, v[134:137] offset:11520
	ds_write_b128 v85, v[52:55]
	v_add_f64 v[36:37], v[150:151], -v[202:203]
	v_add_f64 v[38:39], v[152:153], -v[206:207]
	;; [unrolled: 1-line block ×4, first 2 shown]
	v_fma_f64 v[60:61], v[60:61], 2.0, -v[156:157]
	v_fma_f64 v[62:63], v[62:63], 2.0, -v[158:159]
	v_add_f64 v[134:135], v[160:161], -v[208:209]
	v_add_f64 v[136:137], v[162:163], -v[210:211]
	;; [unrolled: 1-line block ×10, first 2 shown]
	v_fma_f64 v[0:1], v[0:1], 2.0, -v[146:147]
	v_fma_f64 v[2:3], v[2:3], 2.0, -v[148:149]
	;; [unrolled: 1-line block ×8, first 2 shown]
	ds_write_b128 v85, v[138:141] offset:11520
	ds_write_b128 v87, v[56:59]
	ds_write_b128 v87, v[142:145] offset:11520
	ds_write_b128 v83, v[60:63]
	ds_write_b128 v83, v[156:159] offset:11520
	v_fma_f64 v[56:57], v[150:151], 2.0, -v[36:37]
	v_fma_f64 v[58:59], v[152:153], 2.0, -v[38:39]
	;; [unrolled: 1-line block ×10, first 2 shown]
	v_lshlrev_b32_e32 v40, 4, v47
	v_cndmask_b32_e64 v41, 0, 0x5a00, s0
	v_fma_f64 v[154:155], v[186:187], 2.0, -v[202:203]
	v_fma_f64 v[156:157], v[188:189], 2.0, -v[204:205]
	;; [unrolled: 1-line block ×4, first 2 shown]
	ds_write_b128 v81, v[0:3]
	ds_write_b128 v81, v[146:149] offset:11520
	v_add3_u32 v0, 0, v41, v40
	ds_write_b128 v79, v[64:67]
	ds_write_b128 v79, v[164:167] offset:11520
	ds_write_b128 v51, v[126:129]
	ds_write_b128 v51, v[32:35] offset:11520
	;; [unrolled: 2-line block ×3, first 2 shown]
	ds_write_b128 v125, v[56:59] offset:23808
	ds_write_b128 v125, v[36:39] offset:35328
	;; [unrolled: 1-line block ×13, first 2 shown]
	v_add_co_u32 v0, s0, 0x5800, v4
	v_add_co_ci_u32_e64 v1, s0, 0, v5, s0
	v_add_co_u32 v2, s0, 0x5800, v8
	v_add_co_ci_u32_e64 v3, s0, 0, v9, s0
	;; [unrolled: 2-line block ×4, first 2 shown]
	ds_write_b128 v125, v[206:209] offset:44544
	s_waitcnt lgkmcnt(0)
	s_barrier
	buffer_gl0_inv
	s_clause 0x3
	global_load_dwordx4 v[4:7], v[0:1], off offset:352
	global_load_dwordx4 v[52:55], v[2:3], off offset:352
	;; [unrolled: 1-line block ×4, first 2 shown]
	v_add_co_u32 v0, s0, 0x5800, v28
	v_lshlrev_b64 v[40:41], 4, v[122:123]
	v_add_co_ci_u32_e64 v1, s0, 0, v29, s0
	v_add_co_u32 v2, s0, 0x5800, v10
	v_add_co_ci_u32_e64 v3, s0, 0, v11, s0
	v_add_co_u32 v8, s0, s8, v40
	;; [unrolled: 2-line block ×4, first 2 shown]
	v_add_co_ci_u32_e64 v29, s0, 0, v9, s0
	v_lshlrev_b64 v[38:39], 4, v[120:121]
	s_clause 0x3
	global_load_dwordx4 v[8:11], v[0:1], off offset:352
	global_load_dwordx4 v[64:67], v[2:3], off offset:352
	;; [unrolled: 1-line block ×4, first 2 shown]
	s_clause 0x3
	buffer_load_dword v28, off, s[24:27], 0 offset:48
	buffer_load_dword v29, off, s[24:27], 0 offset:52
	;; [unrolled: 1-line block ×4, first 2 shown]
	v_add_co_u32 v26, s0, s8, v38
	v_add_co_ci_u32_e64 v27, s0, s9, v39, s0
	v_add_co_u32 v26, s0, 0x5800, v26
	v_add_co_ci_u32_e64 v27, s0, 0, v27, s0
	s_waitcnt vmcnt(2)
	v_lshlrev_b64 v[36:37], 4, v[28:29]
	s_waitcnt vmcnt(0)
	v_lshlrev_b64 v[34:35], 4, v[30:31]
	s_clause 0x1
	buffer_load_dword v30, off, s[24:27], 0 offset:32
	buffer_load_dword v31, off, s[24:27], 0 offset:36
	v_add_co_u32 v28, s0, s8, v36
	v_add_co_ci_u32_e64 v29, s0, s9, v37, s0
	v_add_co_u32 v28, s0, 0x5800, v28
	v_add_co_ci_u32_e64 v29, s0, 0, v29, s0
	s_waitcnt vmcnt(0)
	v_lshlrev_b64 v[32:33], 4, v[30:31]
	v_add_co_u32 v30, s0, s8, v34
	v_add_co_ci_u32_e64 v31, s0, s9, v35, s0
	v_add_co_u32 v71, s0, s8, v32
	v_add_co_ci_u32_e64 v89, s0, s9, v33, s0
	;; [unrolled: 2-line block ×3, first 2 shown]
	s_clause 0x1
	buffer_load_dword v30, off, s[24:27], 0 offset:24
	buffer_load_dword v31, off, s[24:27], 0 offset:28
	v_add_co_u32 v104, s0, 0x5800, v71
	v_add_co_ci_u32_e64 v105, s0, 0, v89, s0
	s_clause 0x3
	global_load_dwordx4 v[112:115], v[26:27], off offset:352
	global_load_dwordx4 v[116:119], v[28:29], off offset:352
	;; [unrolled: 1-line block ×4, first 2 shown]
	s_clause 0x1
	buffer_load_dword v28, off, s[24:27], 0 offset:16
	buffer_load_dword v29, off, s[24:27], 0 offset:20
	s_waitcnt vmcnt(6)
	v_lshlrev_b64 v[30:31], 4, v[30:31]
	v_add_co_u32 v26, s0, s8, v30
	v_add_co_ci_u32_e64 v27, s0, s9, v31, s0
	s_waitcnt vmcnt(0)
	v_lshlrev_b64 v[28:29], 4, v[28:29]
	v_add_co_u32 v47, s0, 0x5800, v26
	v_add_co_ci_u32_e64 v48, s0, 0, v27, s0
	s_clause 0x1
	buffer_load_dword v26, off, s[24:27], 0 offset:8
	buffer_load_dword v27, off, s[24:27], 0 offset:12
	v_add_co_u32 v71, s0, s8, v28
	v_add_co_ci_u32_e64 v89, s0, s9, v29, s0
	s_waitcnt vmcnt(0)
	v_lshlrev_b64 v[26:27], 4, v[26:27]
	v_add_co_u32 v91, s0, s8, v26
	v_add_co_ci_u32_e64 v93, s0, s9, v27, s0
	v_add_co_u32 v104, s0, 0x5800, v71
	v_add_co_ci_u32_e64 v105, s0, 0, v89, s0
	;; [unrolled: 2-line block ×3, first 2 shown]
	s_clause 0x2
	global_load_dwordx4 v[107:110], v[47:48], off offset:352
	global_load_dwordx4 v[134:137], v[104:105], off offset:352
	;; [unrolled: 1-line block ×3, first 2 shown]
	ds_read_b128 v[142:145], v125 offset:23040
	ds_read_b128 v[146:149], v125 offset:24576
	;; [unrolled: 1-line block ×5, first 2 shown]
	ds_read_b128 v[162:165], v125
	ds_read_b128 v[166:169], v125 offset:30720
	ds_read_b128 v[170:173], v125 offset:32256
	;; [unrolled: 1-line block ×4, first 2 shown]
	s_waitcnt lgkmcnt(9)
	v_mul_f64 v[47:48], v[144:145], v[6:7]
	v_mul_f64 v[6:7], v[142:143], v[6:7]
	s_waitcnt lgkmcnt(8)
	v_mul_f64 v[104:105], v[148:149], v[54:55]
	v_mul_f64 v[54:55], v[146:147], v[54:55]
	;; [unrolled: 3-line block ×4, first 2 shown]
	v_mul_f64 v[184:185], v[156:157], v[62:63]
	v_mul_f64 v[62:63], v[154:155], v[62:63]
	s_waitcnt lgkmcnt(3)
	v_mul_f64 v[188:189], v[168:169], v[66:67]
	v_mul_f64 v[66:67], v[166:167], v[66:67]
	s_waitcnt lgkmcnt(2)
	;; [unrolled: 3-line block ×4, first 2 shown]
	v_mul_f64 v[200:201], v[180:181], v[114:115]
	v_mul_f64 v[114:115], v[178:179], v[114:115]
	v_fma_f64 v[47:48], v[142:143], v[4:5], -v[47:48]
	v_fma_f64 v[190:191], v[144:145], v[4:5], v[6:7]
	v_fma_f64 v[104:105], v[146:147], v[52:53], -v[104:105]
	v_fma_f64 v[194:195], v[148:149], v[52:53], v[54:55]
	ds_read_b128 v[2:5], v125 offset:36864
	ds_read_b128 v[52:55], v125 offset:38400
	v_fma_f64 v[182:183], v[150:151], v[56:57], -v[182:183]
	v_fma_f64 v[202:203], v[152:153], v[56:57], v[58:59]
	v_fma_f64 v[186:187], v[158:159], v[8:9], -v[186:187]
	v_fma_f64 v[206:207], v[160:161], v[8:9], v[10:11]
	ds_read_b128 v[6:9], v85
	ds_read_b128 v[150:153], v87
	ds_read_b128 v[142:145], v125 offset:39936
	ds_read_b128 v[56:59], v125 offset:41472
	v_fma_f64 v[184:185], v[154:155], v[60:61], -v[184:185]
	ds_read_b128 v[146:149], v125 offset:43008
	v_fma_f64 v[204:205], v[156:157], v[60:61], v[62:63]
	ds_read_b128 v[60:63], v125 offset:44544
	v_fma_f64 v[166:167], v[166:167], v[64:65], -v[188:189]
	v_fma_f64 v[168:169], v[168:169], v[64:65], v[66:67]
	v_fma_f64 v[170:171], v[170:171], v[120:121], -v[192:193]
	v_fma_f64 v[122:123], v[172:173], v[120:121], v[122:123]
	v_add_f64 v[64:65], v[162:163], -v[47:48]
	v_add_f64 v[66:67], v[164:165], -v[190:191]
	s_waitcnt lgkmcnt(7)
	v_mul_f64 v[10:11], v[4:5], v[118:119]
	v_fma_f64 v[172:173], v[174:175], v[0:1], -v[196:197]
	v_mul_f64 v[174:175], v[2:3], v[118:119]
	s_waitcnt lgkmcnt(6)
	v_mul_f64 v[188:189], v[54:55], v[128:129]
	v_mul_f64 v[128:129], v[52:53], v[128:129]
	ds_read_b128 v[158:161], v83
	s_waitcnt lgkmcnt(6)
	v_add_f64 v[118:119], v[6:7], -v[104:105]
	v_add_f64 v[120:121], v[8:9], -v[194:195]
	s_waitcnt lgkmcnt(5)
	v_add_f64 v[154:155], v[150:151], -v[182:183]
	v_add_f64 v[156:157], v[152:153], -v[202:203]
	s_waitcnt lgkmcnt(4)
	v_mul_f64 v[192:193], v[144:145], v[132:133]
	v_mul_f64 v[132:133], v[142:143], v[132:133]
	v_fma_f64 v[47:48], v[176:177], v[0:1], v[198:199]
	v_fma_f64 v[104:105], v[178:179], v[112:113], -v[200:201]
	v_fma_f64 v[176:177], v[180:181], v[112:113], v[114:115]
	v_fma_f64 v[0:1], v[162:163], 2.0, -v[64:65]
	v_fma_f64 v[178:179], v[2:3], v[116:117], -v[10:11]
	v_fma_f64 v[2:3], v[164:165], 2.0, -v[66:67]
	v_fma_f64 v[174:175], v[4:5], v[116:117], v[174:175]
	v_fma_f64 v[180:181], v[52:53], v[126:127], -v[188:189]
	v_fma_f64 v[182:183], v[54:55], v[126:127], v[128:129]
	ds_read_b128 v[52:55], v81
	v_fma_f64 v[4:5], v[6:7], 2.0, -v[118:119]
	v_fma_f64 v[6:7], v[8:9], 2.0, -v[120:121]
	;; [unrolled: 1-line block ×4, first 2 shown]
	v_fma_f64 v[188:189], v[142:143], v[130:131], -v[192:193]
	v_fma_f64 v[190:191], v[144:145], v[130:131], v[132:133]
	s_waitcnt vmcnt(2) lgkmcnt(4)
	v_mul_f64 v[196:197], v[58:59], v[109:110]
	v_mul_f64 v[109:110], v[56:57], v[109:110]
	s_waitcnt vmcnt(1) lgkmcnt(3)
	v_mul_f64 v[208:209], v[148:149], v[136:137]
	v_mul_f64 v[136:137], v[146:147], v[136:137]
	;; [unrolled: 3-line block ×3, first 2 shown]
	v_fma_f64 v[192:193], v[56:57], v[107:108], -v[196:197]
	v_fma_f64 v[194:195], v[58:59], v[107:108], v[109:110]
	v_fma_f64 v[196:197], v[146:147], v[134:135], -v[208:209]
	v_fma_f64 v[198:199], v[148:149], v[134:135], v[136:137]
	v_fma_f64 v[200:201], v[60:61], v[138:139], -v[210:211]
	s_waitcnt lgkmcnt(1)
	v_add_f64 v[56:57], v[158:159], -v[184:185]
	v_fma_f64 v[184:185], v[62:63], v[138:139], v[140:141]
	ds_read_b128 v[60:63], v51
	ds_read_b128 v[107:110], v50
	;; [unrolled: 1-line block ×10, first 2 shown]
	v_add_f64 v[58:59], v[160:161], -v[204:205]
	s_waitcnt lgkmcnt(0)
	s_barrier
	buffer_gl0_inv
	ds_write_b128 v125, v[0:3]
	ds_write_b128 v125, v[64:67] offset:23040
	ds_write_b128 v85, v[4:7]
	ds_write_b128 v85, v[118:121] offset:23040
	;; [unrolled: 2-line block ×3, first 2 shown]
	v_add_f64 v[4:5], v[52:53], -v[186:187]
	v_add_f64 v[6:7], v[54:55], -v[206:207]
	v_add_f64 v[64:65], v[60:61], -v[170:171]
	v_add_f64 v[66:67], v[62:63], -v[122:123]
	v_add_f64 v[8:9], v[111:112], -v[166:167]
	v_add_f64 v[10:11], v[113:114], -v[168:169]
	v_add_f64 v[115:116], v[107:108], -v[172:173]
	v_add_f64 v[117:118], v[109:110], -v[47:48]
	v_add_f64 v[119:120], v[126:127], -v[104:105]
	v_add_f64 v[121:122], v[128:129], -v[176:177]
	v_add_f64 v[154:155], v[130:131], -v[178:179]
	v_add_f64 v[156:157], v[132:133], -v[174:175]
	v_fma_f64 v[0:1], v[158:159], 2.0, -v[56:57]
	v_add_f64 v[158:159], v[134:135], -v[180:181]
	v_fma_f64 v[2:3], v[160:161], 2.0, -v[58:59]
	v_add_f64 v[160:161], v[136:137], -v[182:183]
	v_add_f64 v[162:163], v[138:139], -v[188:189]
	;; [unrolled: 1-line block ×9, first 2 shown]
	v_fma_f64 v[52:53], v[52:53], 2.0, -v[4:5]
	v_fma_f64 v[54:55], v[54:55], 2.0, -v[6:7]
	;; [unrolled: 1-line block ×22, first 2 shown]
	ds_write_b128 v83, v[0:3]
	ds_write_b128 v83, v[56:59] offset:23040
	ds_write_b128 v81, v[52:55]
	ds_write_b128 v81, v[4:7] offset:23040
	;; [unrolled: 2-line block ×12, first 2 shown]
	s_waitcnt lgkmcnt(0)
	s_barrier
	buffer_gl0_inv
	ds_read_b128 v[8:11], v125
	v_sub_nc_u32_e32 v47, 0, v69
                                        ; implicit-def: $vgpr2_vgpr3
                                        ; implicit-def: $vgpr6_vgpr7
	v_cmpx_ne_u32_e32 0, v70
	s_xor_b32 s5, exec_lo, s5
	s_cbranch_execz .LBB0_15
; %bb.14:
	v_add_co_u32 v0, s0, s1, v12
	v_add_co_ci_u32_e64 v1, s0, s4, v13, s0
	ds_read_b128 v[52:55], v47 offset:46080
	global_load_dwordx4 v[2:5], v[0:1], off
	s_waitcnt lgkmcnt(0)
	v_add_f64 v[0:1], v[8:9], -v[52:53]
	v_add_f64 v[6:7], v[10:11], v[54:55]
	v_add_f64 v[10:11], v[10:11], -v[54:55]
	v_mul_f64 v[54:55], v[0:1], 0.5
	v_add_f64 v[0:1], v[8:9], v[52:53]
	v_mul_f64 v[8:9], v[6:7], 0.5
	v_mul_f64 v[6:7], v[10:11], 0.5
	s_waitcnt vmcnt(0)
	v_mul_f64 v[10:11], v[54:55], v[4:5]
	v_fma_f64 v[52:53], v[8:9], v[4:5], v[6:7]
	v_fma_f64 v[56:57], v[0:1], 0.5, v[10:11]
	v_fma_f64 v[0:1], v[0:1], 0.5, -v[10:11]
	v_fma_f64 v[10:11], v[8:9], v[4:5], -v[6:7]
	v_fma_f64 v[6:7], -v[2:3], v[54:55], v[52:53]
	v_fma_f64 v[4:5], v[8:9], v[2:3], v[56:57]
	v_fma_f64 v[0:1], -v[8:9], v[2:3], v[0:1]
	v_fma_f64 v[2:3], -v[2:3], v[54:55], v[10:11]
                                        ; implicit-def: $vgpr8_vgpr9
.LBB0_15:
	s_or_saveexec_b32 s0, s5
	v_mul_i32_i24_e32 v52, 0xffffff70, v106
	v_mul_i32_i24_e32 v48, 0xffffff70, v103
	s_xor_b32 exec_lo, exec_lo, s0
	s_cbranch_execz .LBB0_17
; %bb.16:
	v_mov_b32_e32 v55, 0
	s_waitcnt lgkmcnt(0)
	v_add_f64 v[4:5], v[8:9], v[10:11]
	v_add_f64 v[0:1], v[8:9], -v[10:11]
	v_mov_b32_e32 v6, 0
	v_mov_b32_e32 v7, 0
	ds_read_b64 v[53:54], v55 offset:23048
	v_mov_b32_e32 v2, v6
	v_mov_b32_e32 v3, v7
	s_waitcnt lgkmcnt(0)
	v_xor_b32_e32 v54, 0x80000000, v54
	ds_write_b64 v55, v[53:54] offset:23048
.LBB0_17:
	s_or_b32 exec_lo, exec_lo, s0
	s_waitcnt lgkmcnt(0)
	v_add_co_u32 v8, s0, s1, v16
	v_add_co_ci_u32_e64 v9, s0, s4, v17, s0
	v_add_co_u32 v14, s0, s1, v14
	v_add_co_ci_u32_e64 v15, s0, s4, v15, s0
	global_load_dwordx4 v[8:11], v[8:9], off
	v_add_nc_u32_e32 v60, v73, v52
	v_add_co_u32 v24, s0, s1, v24
	global_load_dwordx4 v[14:17], v[14:15], off
	ds_write_b128 v125, v[4:7]
	ds_write_b128 v47, v[0:3] offset:46080
	ds_read_b128 v[0:3], v60
	ds_read_b128 v[4:7], v47 offset:44544
	v_add_co_ci_u32_e64 v25, s0, s4, v25, s0
	v_add_nc_u32_e32 v48, v77, v48
	global_load_dwordx4 v[52:55], v[24:25], off
	s_waitcnt lgkmcnt(0)
	v_add_f64 v[24:25], v[0:1], -v[4:5]
	v_add_f64 v[56:57], v[2:3], v[6:7]
	v_add_f64 v[2:3], v[2:3], -v[6:7]
	v_add_f64 v[0:1], v[0:1], v[4:5]
	v_mul_f64 v[6:7], v[24:25], 0.5
	v_mul_f64 v[24:25], v[56:57], 0.5
	;; [unrolled: 1-line block ×3, first 2 shown]
	s_waitcnt vmcnt(2)
	v_mul_f64 v[4:5], v[6:7], v[10:11]
	v_fma_f64 v[56:57], v[24:25], v[10:11], v[2:3]
	v_fma_f64 v[10:11], v[24:25], v[10:11], -v[2:3]
	v_fma_f64 v[58:59], v[0:1], 0.5, v[4:5]
	v_fma_f64 v[4:5], v[0:1], 0.5, -v[4:5]
	v_fma_f64 v[2:3], -v[8:9], v[6:7], v[56:57]
	v_fma_f64 v[6:7], -v[8:9], v[6:7], v[10:11]
	v_fma_f64 v[0:1], v[24:25], v[8:9], v[58:59]
	v_fma_f64 v[4:5], -v[24:25], v[8:9], v[4:5]
	v_add_co_u32 v8, s0, s1, v22
	v_add_co_ci_u32_e64 v9, s0, s4, v23, s0
	ds_write_b128 v60, v[0:3]
	ds_write_b128 v47, v[4:7] offset:44544
	ds_read_b128 v[0:3], v48
	ds_read_b128 v[4:7], v47 offset:43008
	global_load_dwordx4 v[8:11], v[8:9], off
	s_waitcnt lgkmcnt(0)
	v_add_f64 v[22:23], v[0:1], -v[4:5]
	v_add_f64 v[24:25], v[2:3], v[6:7]
	v_add_f64 v[2:3], v[2:3], -v[6:7]
	v_add_f64 v[0:1], v[0:1], v[4:5]
	v_mul_f64 v[6:7], v[22:23], 0.5
	v_mul_f64 v[22:23], v[24:25], 0.5
	;; [unrolled: 1-line block ×3, first 2 shown]
	s_waitcnt vmcnt(2)
	v_mul_f64 v[4:5], v[6:7], v[16:17]
	v_fma_f64 v[24:25], v[22:23], v[16:17], v[2:3]
	v_fma_f64 v[16:17], v[22:23], v[16:17], -v[2:3]
	v_fma_f64 v[56:57], v[0:1], 0.5, v[4:5]
	v_fma_f64 v[4:5], v[0:1], 0.5, -v[4:5]
	v_fma_f64 v[2:3], -v[14:15], v[6:7], v[24:25]
	v_fma_f64 v[6:7], -v[14:15], v[6:7], v[16:17]
	v_fma_f64 v[0:1], v[22:23], v[14:15], v[56:57]
	v_fma_f64 v[4:5], -v[22:23], v[14:15], v[4:5]
	v_add_co_u32 v14, s0, s1, v20
	v_add_co_ci_u32_e64 v15, s0, s4, v21, s0
	v_add_co_u32 v18, s0, s1, v18
	v_add_co_ci_u32_e64 v19, s0, s4, v19, s0
	ds_write_b128 v48, v[0:3]
	ds_write_b128 v47, v[4:7] offset:43008
	ds_read_b128 v[0:3], v83
	ds_read_b128 v[4:7], v47 offset:41472
	global_load_dwordx4 v[14:17], v[14:15], off
	s_waitcnt lgkmcnt(0)
	v_add_f64 v[20:21], v[0:1], -v[4:5]
	v_add_f64 v[22:23], v[2:3], v[6:7]
	v_add_f64 v[2:3], v[2:3], -v[6:7]
	v_add_f64 v[0:1], v[0:1], v[4:5]
	v_mul_f64 v[6:7], v[20:21], 0.5
	v_mul_f64 v[20:21], v[22:23], 0.5
	;; [unrolled: 1-line block ×3, first 2 shown]
	s_waitcnt vmcnt(2)
	v_mul_f64 v[4:5], v[6:7], v[54:55]
	v_fma_f64 v[22:23], v[20:21], v[54:55], v[2:3]
	v_fma_f64 v[24:25], v[20:21], v[54:55], -v[2:3]
	v_fma_f64 v[54:55], v[0:1], 0.5, v[4:5]
	v_fma_f64 v[4:5], v[0:1], 0.5, -v[4:5]
	v_fma_f64 v[2:3], -v[52:53], v[6:7], v[22:23]
	v_fma_f64 v[6:7], -v[52:53], v[6:7], v[24:25]
	v_fma_f64 v[0:1], v[20:21], v[52:53], v[54:55]
	v_fma_f64 v[4:5], -v[20:21], v[52:53], v[4:5]
	ds_write_b128 v83, v[0:3]
	ds_write_b128 v47, v[4:7] offset:41472
	ds_read_b128 v[0:3], v81
	ds_read_b128 v[4:7], v47 offset:39936
	global_load_dwordx4 v[18:21], v[18:19], off
	s_waitcnt lgkmcnt(0)
	v_add_f64 v[22:23], v[0:1], -v[4:5]
	v_add_f64 v[24:25], v[2:3], v[6:7]
	v_add_f64 v[2:3], v[2:3], -v[6:7]
	v_add_f64 v[0:1], v[0:1], v[4:5]
	v_mul_f64 v[6:7], v[22:23], 0.5
	v_mul_f64 v[22:23], v[24:25], 0.5
	v_mul_f64 v[2:3], v[2:3], 0.5
	s_waitcnt vmcnt(2)
	v_mul_f64 v[4:5], v[6:7], v[10:11]
	v_fma_f64 v[24:25], v[22:23], v[10:11], v[2:3]
	v_fma_f64 v[10:11], v[22:23], v[10:11], -v[2:3]
	v_fma_f64 v[52:53], v[0:1], 0.5, v[4:5]
	v_fma_f64 v[4:5], v[0:1], 0.5, -v[4:5]
	v_fma_f64 v[2:3], -v[8:9], v[6:7], v[24:25]
	v_fma_f64 v[6:7], -v[8:9], v[6:7], v[10:11]
	v_fma_f64 v[0:1], v[22:23], v[8:9], v[52:53]
	v_fma_f64 v[4:5], -v[22:23], v[8:9], v[4:5]
	v_add_co_u32 v8, s0, s1, v40
	v_add_co_ci_u32_e64 v9, s0, s4, v41, s0
	ds_write_b128 v81, v[0:3]
	ds_write_b128 v47, v[4:7] offset:39936
	ds_read_b128 v[0:3], v79
	ds_read_b128 v[4:7], v47 offset:38400
	global_load_dwordx4 v[8:11], v[8:9], off
	s_waitcnt lgkmcnt(0)
	v_add_f64 v[22:23], v[0:1], -v[4:5]
	v_add_f64 v[24:25], v[2:3], v[6:7]
	v_add_f64 v[2:3], v[2:3], -v[6:7]
	v_add_f64 v[0:1], v[0:1], v[4:5]
	v_mul_f64 v[6:7], v[22:23], 0.5
	v_mul_f64 v[22:23], v[24:25], 0.5
	v_mul_f64 v[2:3], v[2:3], 0.5
	s_waitcnt vmcnt(2)
	v_mul_f64 v[4:5], v[6:7], v[16:17]
	v_fma_f64 v[24:25], v[22:23], v[16:17], v[2:3]
	v_fma_f64 v[16:17], v[22:23], v[16:17], -v[2:3]
	v_fma_f64 v[40:41], v[0:1], 0.5, v[4:5]
	v_fma_f64 v[4:5], v[0:1], 0.5, -v[4:5]
	v_fma_f64 v[2:3], -v[14:15], v[6:7], v[24:25]
	v_fma_f64 v[6:7], -v[14:15], v[6:7], v[16:17]
	v_fma_f64 v[0:1], v[22:23], v[14:15], v[40:41]
	v_fma_f64 v[4:5], -v[22:23], v[14:15], v[4:5]
	v_add_co_u32 v14, s0, s1, v38
	v_add_co_ci_u32_e64 v15, s0, s4, v39, s0
	;; [unrolled: 25-line block ×8, first 2 shown]
	ds_write_b128 v45, v[0:3]
	ds_write_b128 v47, v[4:7] offset:29184
	ds_read_b128 v[0:3], v44
	ds_read_b128 v[4:7], v47 offset:27648
	global_load_dwordx4 v[14:17], v[14:15], off
	s_waitcnt lgkmcnt(0)
	v_add_f64 v[22:23], v[0:1], -v[4:5]
	v_add_f64 v[24:25], v[2:3], v[6:7]
	v_add_f64 v[2:3], v[2:3], -v[6:7]
	v_add_f64 v[0:1], v[0:1], v[4:5]
	v_mul_f64 v[6:7], v[22:23], 0.5
	v_mul_f64 v[22:23], v[24:25], 0.5
	;; [unrolled: 1-line block ×3, first 2 shown]
	s_waitcnt vmcnt(2)
	v_mul_f64 v[4:5], v[6:7], v[20:21]
	v_fma_f64 v[24:25], v[22:23], v[20:21], v[2:3]
	v_fma_f64 v[20:21], v[22:23], v[20:21], -v[2:3]
	v_fma_f64 v[26:27], v[0:1], 0.5, v[4:5]
	v_fma_f64 v[4:5], v[0:1], 0.5, -v[4:5]
	v_fma_f64 v[2:3], -v[18:19], v[6:7], v[24:25]
	v_fma_f64 v[6:7], -v[18:19], v[6:7], v[20:21]
	v_fma_f64 v[0:1], v[22:23], v[18:19], v[26:27]
	v_fma_f64 v[4:5], -v[22:23], v[18:19], v[4:5]
	ds_write_b128 v44, v[0:3]
	ds_write_b128 v47, v[4:7] offset:27648
	ds_read_b128 v[0:3], v43
	ds_read_b128 v[4:7], v47 offset:26112
	s_waitcnt lgkmcnt(0)
	v_add_f64 v[18:19], v[0:1], -v[4:5]
	v_add_f64 v[20:21], v[2:3], v[6:7]
	v_add_f64 v[2:3], v[2:3], -v[6:7]
	v_add_f64 v[0:1], v[0:1], v[4:5]
	v_mul_f64 v[6:7], v[18:19], 0.5
	v_mul_f64 v[18:19], v[20:21], 0.5
	v_mul_f64 v[2:3], v[2:3], 0.5
	s_waitcnt vmcnt(1)
	v_mul_f64 v[4:5], v[6:7], v[10:11]
	v_fma_f64 v[20:21], v[18:19], v[10:11], v[2:3]
	v_fma_f64 v[10:11], v[18:19], v[10:11], -v[2:3]
	v_fma_f64 v[22:23], v[0:1], 0.5, v[4:5]
	v_fma_f64 v[4:5], v[0:1], 0.5, -v[4:5]
	v_fma_f64 v[2:3], -v[8:9], v[6:7], v[20:21]
	v_fma_f64 v[6:7], -v[8:9], v[6:7], v[10:11]
	v_fma_f64 v[0:1], v[18:19], v[8:9], v[22:23]
	v_fma_f64 v[4:5], -v[18:19], v[8:9], v[4:5]
	ds_write_b128 v43, v[0:3]
	ds_write_b128 v47, v[4:7] offset:26112
	ds_read_b128 v[0:3], v42
	ds_read_b128 v[4:7], v47 offset:24576
	s_waitcnt lgkmcnt(0)
	v_add_f64 v[8:9], v[0:1], -v[4:5]
	v_add_f64 v[10:11], v[2:3], v[6:7]
	v_add_f64 v[2:3], v[2:3], -v[6:7]
	v_add_f64 v[0:1], v[0:1], v[4:5]
	v_mul_f64 v[6:7], v[8:9], 0.5
	v_mul_f64 v[8:9], v[10:11], 0.5
	;; [unrolled: 1-line block ×3, first 2 shown]
	s_waitcnt vmcnt(0)
	v_mul_f64 v[4:5], v[6:7], v[16:17]
	v_fma_f64 v[10:11], v[8:9], v[16:17], v[2:3]
	v_fma_f64 v[16:17], v[8:9], v[16:17], -v[2:3]
	v_fma_f64 v[18:19], v[0:1], 0.5, v[4:5]
	v_fma_f64 v[4:5], v[0:1], 0.5, -v[4:5]
	v_fma_f64 v[2:3], -v[14:15], v[6:7], v[10:11]
	v_fma_f64 v[6:7], -v[14:15], v[6:7], v[16:17]
	v_fma_f64 v[0:1], v[8:9], v[14:15], v[18:19]
	v_fma_f64 v[4:5], -v[8:9], v[14:15], v[4:5]
	ds_write_b128 v42, v[0:3]
	ds_write_b128 v47, v[4:7] offset:24576
	s_waitcnt lgkmcnt(0)
	s_barrier
	buffer_gl0_inv
	s_and_saveexec_b32 s0, vcc_lo
	s_cbranch_execz .LBB0_20
; %bb.18:
	ds_read_b128 v[2:5], v125
	ds_read_b128 v[6:9], v125 offset:1536
	s_clause 0x1
	buffer_load_dword v0, off, s[24:27], 0
	buffer_load_dword v1, off, s[24:27], 0 offset:4
	v_mov_b32_e32 v69, 0
	v_lshlrev_b64 v[10:11], 4, v[68:69]
	v_mov_b32_e32 v101, v69
	v_mov_b32_e32 v99, v69
	;; [unrolled: 1-line block ×5, first 2 shown]
	v_lshlrev_b64 v[20:21], 4, v[100:101]
	v_lshlrev_b64 v[22:23], 4, v[98:99]
	;; [unrolled: 1-line block ×3, first 2 shown]
	v_mov_b32_e32 v91, v69
	v_mov_b32_e32 v87, v69
	;; [unrolled: 1-line block ×7, first 2 shown]
	v_add_nc_u32_e32 v68, 0x5a0, v70
	v_mov_b32_e32 v103, v69
	v_mov_b32_e32 v93, v69
	;; [unrolled: 1-line block ×4, first 2 shown]
	s_waitcnt vmcnt(1)
	v_add_co_u32 v0, vcc_lo, s2, v0
	s_waitcnt vmcnt(0)
	v_add_co_ci_u32_e32 v1, vcc_lo, s3, v1, vcc_lo
	v_add_co_u32 v12, vcc_lo, v0, v12
	v_add_co_ci_u32_e32 v13, vcc_lo, v1, v13, vcc_lo
	v_add_co_u32 v18, vcc_lo, v0, v10
	s_waitcnt lgkmcnt(1)
	global_store_dwordx4 v[12:13], v[2:5], off
	s_waitcnt lgkmcnt(0)
	global_store_dwordx4 v[12:13], v[6:9], off offset:1536
	ds_read_b128 v[2:5], v125 offset:3072
	ds_read_b128 v[6:9], v125 offset:4608
	v_add_co_ci_u32_e32 v19, vcc_lo, v1, v11, vcc_lo
	ds_read_b128 v[10:13], v125 offset:6144
	ds_read_b128 v[14:17], v125 offset:7680
	v_add_co_u32 v20, vcc_lo, v0, v20
	v_add_co_ci_u32_e32 v21, vcc_lo, v1, v21, vcc_lo
	v_add_co_u32 v22, vcc_lo, v0, v22
	v_add_co_ci_u32_e32 v23, vcc_lo, v1, v23, vcc_lo
	;; [unrolled: 2-line block ×3, first 2 shown]
	s_waitcnt lgkmcnt(3)
	global_store_dwordx4 v[18:19], v[2:5], off
	s_waitcnt lgkmcnt(2)
	global_store_dwordx4 v[20:21], v[6:9], off
	v_lshlrev_b64 v[2:3], 4, v[94:95]
	s_waitcnt lgkmcnt(1)
	global_store_dwordx4 v[22:23], v[10:13], off
	s_waitcnt lgkmcnt(0)
	global_store_dwordx4 v[24:25], v[14:17], off
	v_lshlrev_b64 v[20:21], 4, v[88:89]
	v_lshlrev_b64 v[22:23], 4, v[90:91]
	;; [unrolled: 1-line block ×3, first 2 shown]
	v_add_co_u32 v18, vcc_lo, v0, v2
	v_add_co_ci_u32_e32 v19, vcc_lo, v1, v3, vcc_lo
	ds_read_b128 v[2:5], v125 offset:9216
	ds_read_b128 v[6:9], v125 offset:10752
	;; [unrolled: 1-line block ×4, first 2 shown]
	v_add_co_u32 v20, vcc_lo, v0, v20
	v_add_co_ci_u32_e32 v21, vcc_lo, v1, v21, vcc_lo
	v_add_co_u32 v22, vcc_lo, v0, v22
	v_add_co_ci_u32_e32 v23, vcc_lo, v1, v23, vcc_lo
	v_add_co_u32 v24, vcc_lo, v0, v24
	v_add_co_ci_u32_e32 v25, vcc_lo, v1, v25, vcc_lo
	s_waitcnt lgkmcnt(3)
	global_store_dwordx4 v[18:19], v[2:5], off
	s_waitcnt lgkmcnt(2)
	global_store_dwordx4 v[20:21], v[6:9], off
	v_lshlrev_b64 v[2:3], 4, v[84:85]
	s_waitcnt lgkmcnt(1)
	global_store_dwordx4 v[22:23], v[10:13], off
	s_waitcnt lgkmcnt(0)
	global_store_dwordx4 v[24:25], v[14:17], off
	v_lshlrev_b64 v[20:21], 4, v[80:81]
	v_lshlrev_b64 v[22:23], 4, v[78:79]
	;; [unrolled: 1-line block ×3, first 2 shown]
	v_add_co_u32 v18, vcc_lo, v0, v2
	v_add_co_ci_u32_e32 v19, vcc_lo, v1, v3, vcc_lo
	ds_read_b128 v[2:5], v125 offset:15360
	ds_read_b128 v[6:9], v125 offset:16896
	;; [unrolled: 1-line block ×4, first 2 shown]
	v_add_co_u32 v20, vcc_lo, v0, v20
	v_add_co_ci_u32_e32 v21, vcc_lo, v1, v21, vcc_lo
	v_add_co_u32 v22, vcc_lo, v0, v22
	v_add_co_ci_u32_e32 v23, vcc_lo, v1, v23, vcc_lo
	;; [unrolled: 2-line block ×3, first 2 shown]
	s_waitcnt lgkmcnt(3)
	global_store_dwordx4 v[18:19], v[2:5], off
	s_waitcnt lgkmcnt(2)
	global_store_dwordx4 v[20:21], v[6:9], off
	v_lshlrev_b64 v[2:3], 4, v[74:75]
	s_waitcnt lgkmcnt(1)
	global_store_dwordx4 v[22:23], v[10:13], off
	s_waitcnt lgkmcnt(0)
	global_store_dwordx4 v[24:25], v[14:17], off
	v_lshlrev_b64 v[20:21], 4, v[68:69]
	v_add_nc_u32_e32 v68, 0x660, v70
	v_lshlrev_b64 v[22:23], 4, v[102:103]
	v_add_co_u32 v18, vcc_lo, v0, v2
	v_add_co_ci_u32_e32 v19, vcc_lo, v1, v3, vcc_lo
	ds_read_b128 v[2:5], v125 offset:21504
	ds_read_b128 v[6:9], v125 offset:23040
	ds_read_b128 v[10:13], v125 offset:24576
	ds_read_b128 v[14:17], v125 offset:26112
	v_add_co_u32 v20, vcc_lo, v0, v20
	v_lshlrev_b64 v[24:25], 4, v[68:69]
	v_add_nc_u32_e32 v68, 0x6c0, v70
	v_add_co_ci_u32_e32 v21, vcc_lo, v1, v21, vcc_lo
	v_add_co_u32 v22, vcc_lo, v0, v22
	v_add_co_ci_u32_e32 v23, vcc_lo, v1, v23, vcc_lo
	s_waitcnt lgkmcnt(3)
	global_store_dwordx4 v[18:19], v[2:5], off
	s_waitcnt lgkmcnt(2)
	global_store_dwordx4 v[20:21], v[6:9], off
	v_lshlrev_b64 v[2:3], 4, v[68:69]
	v_add_co_u32 v24, vcc_lo, v0, v24
	v_add_co_ci_u32_e32 v25, vcc_lo, v1, v25, vcc_lo
	s_waitcnt lgkmcnt(1)
	global_store_dwordx4 v[22:23], v[10:13], off
	s_waitcnt lgkmcnt(0)
	global_store_dwordx4 v[24:25], v[14:17], off
	v_add_co_u32 v18, vcc_lo, v0, v2
	v_add_co_ci_u32_e32 v19, vcc_lo, v1, v3, vcc_lo
	ds_read_b128 v[2:5], v125 offset:27648
	ds_read_b128 v[6:9], v125 offset:29184
	v_add_nc_u32_e32 v68, 0x720, v70
	ds_read_b128 v[10:13], v125 offset:30720
	ds_read_b128 v[14:17], v125 offset:32256
	v_lshlrev_b64 v[22:23], 4, v[92:93]
	v_lshlrev_b64 v[20:21], 4, v[68:69]
	v_add_nc_u32_e32 v68, 0x7e0, v70
	v_add_co_u32 v20, vcc_lo, v0, v20
	v_lshlrev_b64 v[24:25], 4, v[68:69]
	v_add_nc_u32_e32 v68, 0x840, v70
	v_add_co_ci_u32_e32 v21, vcc_lo, v1, v21, vcc_lo
	v_add_co_u32 v22, vcc_lo, v0, v22
	v_add_co_ci_u32_e32 v23, vcc_lo, v1, v23, vcc_lo
	s_waitcnt lgkmcnt(3)
	global_store_dwordx4 v[18:19], v[2:5], off
	s_waitcnt lgkmcnt(2)
	global_store_dwordx4 v[20:21], v[6:9], off
	v_lshlrev_b64 v[2:3], 4, v[68:69]
	v_add_co_u32 v24, vcc_lo, v0, v24
	v_add_co_ci_u32_e32 v25, vcc_lo, v1, v25, vcc_lo
	s_waitcnt lgkmcnt(1)
	global_store_dwordx4 v[22:23], v[10:13], off
	s_waitcnt lgkmcnt(0)
	global_store_dwordx4 v[24:25], v[14:17], off
	v_add_co_u32 v18, vcc_lo, v0, v2
	v_add_co_ci_u32_e32 v19, vcc_lo, v1, v3, vcc_lo
	ds_read_b128 v[2:5], v125 offset:33792
	ds_read_b128 v[6:9], v125 offset:35328
	v_add_nc_u32_e32 v68, 0x8a0, v70
	ds_read_b128 v[10:13], v125 offset:36864
	ds_read_b128 v[14:17], v125 offset:38400
	v_lshlrev_b64 v[22:23], 4, v[82:83]
	v_lshlrev_b64 v[20:21], 4, v[68:69]
	v_add_nc_u32_e32 v68, 0x960, v70
	v_lshlrev_b64 v[24:25], 4, v[68:69]
	v_add_nc_u32_e32 v68, 0x9c0, v70
	v_add_co_u32 v20, vcc_lo, v0, v20
	v_add_co_ci_u32_e32 v21, vcc_lo, v1, v21, vcc_lo
	v_add_co_u32 v22, vcc_lo, v0, v22
	s_waitcnt lgkmcnt(3)
	global_store_dwordx4 v[18:19], v[2:5], off
	v_lshlrev_b64 v[2:3], 4, v[68:69]
	v_add_co_ci_u32_e32 v23, vcc_lo, v1, v23, vcc_lo
	v_add_co_u32 v24, vcc_lo, v0, v24
	v_add_nc_u32_e32 v68, 0xa20, v70
	v_add_co_ci_u32_e32 v25, vcc_lo, v1, v25, vcc_lo
	v_add_co_u32 v18, vcc_lo, v0, v2
	s_waitcnt lgkmcnt(2)
	global_store_dwordx4 v[20:21], v[6:9], off
	s_waitcnt lgkmcnt(1)
	global_store_dwordx4 v[22:23], v[10:13], off
	;; [unrolled: 2-line block ×3, first 2 shown]
	v_add_co_ci_u32_e32 v19, vcc_lo, v1, v3, vcc_lo
	ds_read_b128 v[2:5], v125 offset:39936
	ds_read_b128 v[6:9], v125 offset:41472
	v_lshlrev_b64 v[20:21], 4, v[68:69]
	ds_read_b128 v[10:13], v125 offset:43008
	ds_read_b128 v[14:17], v125 offset:44544
	v_add_nc_u32_e32 v68, 0xae0, v70
	v_lshlrev_b64 v[22:23], 4, v[72:73]
	v_add_co_u32 v20, vcc_lo, v0, v20
	v_lshlrev_b64 v[24:25], 4, v[68:69]
	v_add_co_ci_u32_e32 v21, vcc_lo, v1, v21, vcc_lo
	v_add_co_u32 v22, vcc_lo, v0, v22
	v_add_co_ci_u32_e32 v23, vcc_lo, v1, v23, vcc_lo
	v_add_co_u32 v24, vcc_lo, v0, v24
	v_add_co_ci_u32_e32 v25, vcc_lo, v1, v25, vcc_lo
	v_cmp_eq_u32_e32 vcc_lo, 0x5f, v70
	s_waitcnt lgkmcnt(3)
	global_store_dwordx4 v[18:19], v[2:5], off
	s_waitcnt lgkmcnt(2)
	global_store_dwordx4 v[20:21], v[6:9], off
	;; [unrolled: 2-line block ×4, first 2 shown]
	s_and_b32 exec_lo, exec_lo, vcc_lo
	s_cbranch_execz .LBB0_20
; %bb.19:
	ds_read_b128 v[2:5], v69 offset:46080
	v_add_co_u32 v0, vcc_lo, 0xb000, v0
	v_add_co_ci_u32_e32 v1, vcc_lo, 0, v1, vcc_lo
	s_waitcnt lgkmcnt(0)
	global_store_dwordx4 v[0:1], v[2:5], off offset:1024
.LBB0_20:
	s_endpgm
	.section	.rodata,"a",@progbits
	.p2align	6, 0x0
	.amdhsa_kernel fft_rtc_fwd_len2880_factors_10_6_6_2_2_2_wgs_96_tpt_96_halfLds_dp_ip_CI_unitstride_sbrr_R2C_dirReg
		.amdhsa_group_segment_fixed_size 0
		.amdhsa_private_segment_fixed_size 60
		.amdhsa_kernarg_size 88
		.amdhsa_user_sgpr_count 6
		.amdhsa_user_sgpr_private_segment_buffer 1
		.amdhsa_user_sgpr_dispatch_ptr 0
		.amdhsa_user_sgpr_queue_ptr 0
		.amdhsa_user_sgpr_kernarg_segment_ptr 1
		.amdhsa_user_sgpr_dispatch_id 0
		.amdhsa_user_sgpr_flat_scratch_init 0
		.amdhsa_user_sgpr_private_segment_size 0
		.amdhsa_wavefront_size32 1
		.amdhsa_uses_dynamic_stack 0
		.amdhsa_system_sgpr_private_segment_wavefront_offset 1
		.amdhsa_system_sgpr_workgroup_id_x 1
		.amdhsa_system_sgpr_workgroup_id_y 0
		.amdhsa_system_sgpr_workgroup_id_z 0
		.amdhsa_system_sgpr_workgroup_info 0
		.amdhsa_system_vgpr_workitem_id 0
		.amdhsa_next_free_vgpr 256
		.amdhsa_next_free_sgpr 28
		.amdhsa_reserve_vcc 1
		.amdhsa_reserve_flat_scratch 0
		.amdhsa_float_round_mode_32 0
		.amdhsa_float_round_mode_16_64 0
		.amdhsa_float_denorm_mode_32 3
		.amdhsa_float_denorm_mode_16_64 3
		.amdhsa_dx10_clamp 1
		.amdhsa_ieee_mode 1
		.amdhsa_fp16_overflow 0
		.amdhsa_workgroup_processor_mode 1
		.amdhsa_memory_ordered 1
		.amdhsa_forward_progress 0
		.amdhsa_shared_vgpr_count 0
		.amdhsa_exception_fp_ieee_invalid_op 0
		.amdhsa_exception_fp_denorm_src 0
		.amdhsa_exception_fp_ieee_div_zero 0
		.amdhsa_exception_fp_ieee_overflow 0
		.amdhsa_exception_fp_ieee_underflow 0
		.amdhsa_exception_fp_ieee_inexact 0
		.amdhsa_exception_int_div_zero 0
	.end_amdhsa_kernel
	.text
.Lfunc_end0:
	.size	fft_rtc_fwd_len2880_factors_10_6_6_2_2_2_wgs_96_tpt_96_halfLds_dp_ip_CI_unitstride_sbrr_R2C_dirReg, .Lfunc_end0-fft_rtc_fwd_len2880_factors_10_6_6_2_2_2_wgs_96_tpt_96_halfLds_dp_ip_CI_unitstride_sbrr_R2C_dirReg
                                        ; -- End function
	.section	.AMDGPU.csdata,"",@progbits
; Kernel info:
; codeLenInByte = 27244
; NumSgprs: 30
; NumVgprs: 256
; ScratchSize: 60
; MemoryBound: 0
; FloatMode: 240
; IeeeMode: 1
; LDSByteSize: 0 bytes/workgroup (compile time only)
; SGPRBlocks: 3
; VGPRBlocks: 31
; NumSGPRsForWavesPerEU: 30
; NumVGPRsForWavesPerEU: 256
; Occupancy: 4
; WaveLimiterHint : 1
; COMPUTE_PGM_RSRC2:SCRATCH_EN: 1
; COMPUTE_PGM_RSRC2:USER_SGPR: 6
; COMPUTE_PGM_RSRC2:TRAP_HANDLER: 0
; COMPUTE_PGM_RSRC2:TGID_X_EN: 1
; COMPUTE_PGM_RSRC2:TGID_Y_EN: 0
; COMPUTE_PGM_RSRC2:TGID_Z_EN: 0
; COMPUTE_PGM_RSRC2:TIDIG_COMP_CNT: 0
	.text
	.p2alignl 6, 3214868480
	.fill 48, 4, 3214868480
	.type	__hip_cuid_ea69844177e5e1b7,@object ; @__hip_cuid_ea69844177e5e1b7
	.section	.bss,"aw",@nobits
	.globl	__hip_cuid_ea69844177e5e1b7
__hip_cuid_ea69844177e5e1b7:
	.byte	0                               ; 0x0
	.size	__hip_cuid_ea69844177e5e1b7, 1

	.ident	"AMD clang version 19.0.0git (https://github.com/RadeonOpenCompute/llvm-project roc-6.4.0 25133 c7fe45cf4b819c5991fe208aaa96edf142730f1d)"
	.section	".note.GNU-stack","",@progbits
	.addrsig
	.addrsig_sym __hip_cuid_ea69844177e5e1b7
	.amdgpu_metadata
---
amdhsa.kernels:
  - .args:
      - .actual_access:  read_only
        .address_space:  global
        .offset:         0
        .size:           8
        .value_kind:     global_buffer
      - .offset:         8
        .size:           8
        .value_kind:     by_value
      - .actual_access:  read_only
        .address_space:  global
        .offset:         16
        .size:           8
        .value_kind:     global_buffer
      - .actual_access:  read_only
        .address_space:  global
        .offset:         24
        .size:           8
        .value_kind:     global_buffer
      - .offset:         32
        .size:           8
        .value_kind:     by_value
      - .actual_access:  read_only
        .address_space:  global
        .offset:         40
        .size:           8
        .value_kind:     global_buffer
      - .actual_access:  read_only
        .address_space:  global
        .offset:         48
        .size:           8
        .value_kind:     global_buffer
      - .offset:         56
        .size:           4
        .value_kind:     by_value
      - .actual_access:  read_only
        .address_space:  global
        .offset:         64
        .size:           8
        .value_kind:     global_buffer
      - .actual_access:  read_only
        .address_space:  global
        .offset:         72
        .size:           8
        .value_kind:     global_buffer
      - .address_space:  global
        .offset:         80
        .size:           8
        .value_kind:     global_buffer
    .group_segment_fixed_size: 0
    .kernarg_segment_align: 8
    .kernarg_segment_size: 88
    .language:       OpenCL C
    .language_version:
      - 2
      - 0
    .max_flat_workgroup_size: 96
    .name:           fft_rtc_fwd_len2880_factors_10_6_6_2_2_2_wgs_96_tpt_96_halfLds_dp_ip_CI_unitstride_sbrr_R2C_dirReg
    .private_segment_fixed_size: 60
    .sgpr_count:     30
    .sgpr_spill_count: 0
    .symbol:         fft_rtc_fwd_len2880_factors_10_6_6_2_2_2_wgs_96_tpt_96_halfLds_dp_ip_CI_unitstride_sbrr_R2C_dirReg.kd
    .uniform_work_group_size: 1
    .uses_dynamic_stack: false
    .vgpr_count:     256
    .vgpr_spill_count: 26
    .wavefront_size: 32
    .workgroup_processor_mode: 1
amdhsa.target:   amdgcn-amd-amdhsa--gfx1030
amdhsa.version:
  - 1
  - 2
...

	.end_amdgpu_metadata
